;; amdgpu-corpus repo=ROCm/rocFFT kind=compiled arch=gfx1100 opt=O3
	.text
	.amdgcn_target "amdgcn-amd-amdhsa--gfx1100"
	.amdhsa_code_object_version 6
	.protected	bluestein_single_back_len825_dim1_dp_op_CI_CI ; -- Begin function bluestein_single_back_len825_dim1_dp_op_CI_CI
	.globl	bluestein_single_back_len825_dim1_dp_op_CI_CI
	.p2align	8
	.type	bluestein_single_back_len825_dim1_dp_op_CI_CI,@function
bluestein_single_back_len825_dim1_dp_op_CI_CI: ; @bluestein_single_back_len825_dim1_dp_op_CI_CI
; %bb.0:
	s_load_b128 s[16:19], s[0:1], 0x28
	v_mul_u32_u24_e32 v1, 0x4a8, v0
	s_mov_b32 s2, exec_lo
	v_mov_b32_e32 v10, 0
	s_delay_alu instid0(VALU_DEP_2) | instskip(NEXT) | instid1(VALU_DEP_1)
	v_lshrrev_b32_e32 v1, 16, v1
	v_add_nc_u32_e32 v9, s15, v1
	s_waitcnt lgkmcnt(0)
	s_delay_alu instid0(VALU_DEP_1)
	v_cmpx_gt_u64_e64 s[16:17], v[9:10]
	s_cbranch_execz .LBB0_15
; %bb.1:
	s_clause 0x1
	s_load_b128 s[4:7], s[0:1], 0x18
	s_load_b64 s[2:3], s[0:1], 0x0
	v_mul_lo_u16 v1, v1, 55
	v_mov_b32_e32 v6, v9
	s_delay_alu instid0(VALU_DEP_2) | instskip(NEXT) | instid1(VALU_DEP_1)
	v_sub_nc_u16 v43, v0, v1
	v_and_b32_e32 v11, 0xffff, v43
	s_delay_alu instid0(VALU_DEP_1)
	v_lshlrev_b32_e32 v8, 4, v11
	s_waitcnt lgkmcnt(0)
	s_load_b128 s[8:11], s[4:5], 0x0
	s_clause 0x1
	global_load_b128 v[94:97], v8, s[2:3]
	global_load_b128 v[98:101], v8, s[2:3] offset:1200
	scratch_store_b64 off, v[6:7], off offset:116 ; 8-byte Folded Spill
	s_waitcnt lgkmcnt(0)
	v_mad_u64_u32 v[2:3], null, s10, v9, 0
	v_mad_u64_u32 v[4:5], null, s8, v11, 0
	s_delay_alu instid0(VALU_DEP_1) | instskip(NEXT) | instid1(VALU_DEP_1)
	v_mad_u64_u32 v[6:7], null, s11, v9, v[3:4]
	v_mov_b32_e32 v3, v6
	s_delay_alu instid0(VALU_DEP_3) | instskip(SKIP_1) | instid1(VALU_DEP_1)
	v_mad_u64_u32 v[9:10], null, s9, v11, v[5:6]
	v_add_co_u32 v0, s4, s2, v8
	v_add_co_ci_u32_e64 v1, null, s3, 0, s4
	s_clause 0x1
	global_load_b128 v[102:105], v8, s[2:3] offset:2400
	global_load_b128 v[106:109], v8, s[2:3] offset:3600
	scratch_store_b32 off, v11, off         ; 4-byte Folded Spill
	v_add_co_u32 v11, vcc_lo, 0x1000, v0
	v_mov_b32_e32 v5, v9
	v_lshlrev_b64 v[2:3], 4, v[2:3]
	v_add_co_ci_u32_e32 v12, vcc_lo, 0, v1, vcc_lo
	v_add_co_u32 v17, vcc_lo, 0x2000, v0
	v_add_co_ci_u32_e32 v18, vcc_lo, 0, v1, vcc_lo
	v_lshlrev_b64 v[4:5], 4, v[4:5]
	v_add_co_u32 v2, vcc_lo, s18, v2
	v_add_co_ci_u32_e32 v3, vcc_lo, s19, v3, vcc_lo
	s_mul_i32 s3, s9, 0x4b
	s_mul_hi_u32 s4, s8, 0x4b
	s_delay_alu instid0(VALU_DEP_2)
	v_add_co_u32 v2, vcc_lo, v2, v4
	s_mul_i32 s2, s8, 0x4b
	s_add_i32 s3, s4, s3
	v_add_co_ci_u32_e32 v3, vcc_lo, v3, v5, vcc_lo
	s_lshl_b64 s[12:13], s[2:3], 4
	s_clause 0x1
	global_load_b128 v[122:125], v[11:12], off offset:704
	global_load_b128 v[118:121], v[11:12], off offset:1904
	v_add_co_u32 v9, vcc_lo, v2, s12
	v_add_co_ci_u32_e32 v10, vcc_lo, s13, v3, vcc_lo
	scratch_store_b64 off, v[11:12], off offset:108 ; 8-byte Folded Spill
	v_add_co_u32 v13, vcc_lo, v9, s12
	v_add_co_ci_u32_e32 v14, vcc_lo, s13, v10, vcc_lo
	s_clause 0x1
	global_load_b128 v[114:117], v[11:12], off offset:3104
	global_load_b128 v[110:113], v[17:18], off offset:208
	v_add_co_u32 v15, vcc_lo, v13, s12
	v_add_co_ci_u32_e32 v16, vcc_lo, s13, v14, vcc_lo
	s_clause 0x1
	global_load_b128 v[4:7], v[2:3], off
	global_load_b128 v[9:12], v[9:10], off
	v_add_co_u32 v2, vcc_lo, v15, s12
	v_add_co_ci_u32_e32 v3, vcc_lo, s13, v16, vcc_lo
	s_clause 0x1
	global_load_b128 v[44:47], v[13:14], off
	global_load_b128 v[48:51], v[15:16], off
	v_add_co_u32 v13, vcc_lo, v2, s12
	v_add_co_ci_u32_e32 v14, vcc_lo, s13, v3, vcc_lo
	global_load_b128 v[52:55], v[2:3], off
	v_add_co_u32 v2, vcc_lo, v13, s12
	v_add_co_ci_u32_e32 v3, vcc_lo, s13, v14, vcc_lo
	;; [unrolled: 3-line block ×6, first 2 shown]
	s_clause 0x1
	global_load_b128 v[134:137], v[17:18], off offset:1408
	global_load_b128 v[126:129], v[17:18], off offset:2608
	global_load_b128 v[72:75], v[13:14], off
	scratch_store_b64 off, v[17:18], off offset:100 ; 8-byte Folded Spill
	global_load_b128 v[130:133], v[17:18], off offset:3808
	global_load_b128 v[76:79], v[2:3], off
	v_cmp_gt_u16_e32 vcc_lo, 20, v43
	s_waitcnt vmcnt(21)
	scratch_store_b128 off, v[94:97], off offset:124 ; 16-byte Folded Spill
	s_waitcnt vmcnt(20)
	scratch_store_b128 off, v[98:101], off offset:140 ; 16-byte Folded Spill
	;; [unrolled: 2-line block ×8, first 2 shown]
	s_waitcnt vmcnt(13)
	v_mul_f64 v[13:14], v[6:7], v[96:97]
	v_mul_f64 v[15:16], v[4:5], v[96:97]
	s_waitcnt vmcnt(12)
	v_mul_f64 v[17:18], v[11:12], v[100:101]
	v_mul_f64 v[19:20], v[9:10], v[100:101]
	;; [unrolled: 3-line block ×11, first 2 shown]
	v_fma_f64 v[4:5], v[4:5], v[94:95], v[13:14]
	v_fma_f64 v[6:7], v[6:7], v[94:95], -v[15:16]
	v_fma_f64 v[9:10], v[9:10], v[98:99], v[17:18]
	v_fma_f64 v[11:12], v[11:12], v[98:99], -v[19:20]
	;; [unrolled: 2-line block ×4, first 2 shown]
	scratch_store_b128 off, v[134:137], off offset:284 ; 16-byte Folded Spill
	v_fma_f64 v[52:53], v[52:53], v[122:123], v[29:30]
	v_fma_f64 v[54:55], v[54:55], v[122:123], -v[31:32]
	s_clause 0x1
	scratch_store_b128 off, v[126:129], off offset:252
	scratch_store_b128 off, v[130:133], off offset:268
	s_load_b64 s[10:11], s[0:1], 0x38
	s_load_b128 s[4:7], s[6:7], 0x0
	v_fma_f64 v[56:57], v[56:57], v[118:119], v[33:34]
	v_fma_f64 v[58:59], v[58:59], v[118:119], -v[35:36]
	ds_store_b128 v8, v[4:7]
	ds_store_b128 v8, v[9:12] offset:1200
	ds_store_b128 v8, v[44:47] offset:2400
	;; [unrolled: 1-line block ×5, first 2 shown]
	v_fma_f64 v[60:61], v[60:61], v[114:115], v[37:38]
	v_fma_f64 v[62:63], v[62:63], v[114:115], -v[39:40]
	v_fma_f64 v[64:65], v[64:65], v[110:111], v[41:42]
	v_fma_f64 v[66:67], v[66:67], v[110:111], -v[80:81]
	;; [unrolled: 2-line block ×5, first 2 shown]
	ds_store_b128 v8, v[60:63] offset:7200
	ds_store_b128 v8, v[64:67] offset:8400
	;; [unrolled: 1-line block ×5, first 2 shown]
	s_and_saveexec_b32 s3, vcc_lo
	s_cbranch_execz .LBB0_3
; %bb.2:
	v_mad_u64_u32 v[6:7], null, 0xffffd490, s8, v[2:3]
	s_clause 0x1
	global_load_b128 v[2:5], v[0:1], off offset:880
	global_load_b128 v[9:12], v[0:1], off offset:2080
	scratch_load_b64 v[19:20], off, off offset:108 ; 8-byte Folded Reload
	global_load_b128 v[44:47], v[0:1], off offset:3280
	s_mul_i32 s2, s9, 0xffffd490
	s_delay_alu instid0(SALU_CYCLE_1) | instskip(NEXT) | instid1(SALU_CYCLE_1)
	s_sub_i32 s2, s2, s8
	v_add_nc_u32_e32 v7, s2, v7
	v_add_co_u32 v13, s2, v6, s12
	s_delay_alu instid0(VALU_DEP_1) | instskip(NEXT) | instid1(VALU_DEP_2)
	v_add_co_ci_u32_e64 v14, s2, s13, v7, s2
	v_add_co_u32 v15, s2, v13, s12
	s_delay_alu instid0(VALU_DEP_1) | instskip(NEXT) | instid1(VALU_DEP_2)
	v_add_co_ci_u32_e64 v16, s2, s13, v14, s2
	v_add_co_u32 v17, s2, v15, s12
	s_delay_alu instid0(VALU_DEP_1)
	v_add_co_ci_u32_e64 v18, s2, s13, v16, s2
	s_waitcnt vmcnt(1)
	s_clause 0x3
	global_load_b128 v[48:51], v[19:20], off offset:384
	global_load_b128 v[52:55], v[19:20], off offset:1584
	;; [unrolled: 1-line block ×4, first 2 shown]
	scratch_load_b64 v[21:22], off, off offset:100 ; 8-byte Folded Reload
	v_add_co_u32 v19, s2, v17, s12
	s_delay_alu instid0(VALU_DEP_1) | instskip(SKIP_2) | instid1(VALU_DEP_1)
	v_add_co_ci_u32_e64 v20, s2, s13, v18, s2
	global_load_b128 v[68:71], v[6:7], off
	v_add_co_u32 v6, s2, v19, s12
	v_add_co_ci_u32_e64 v7, s2, s13, v20, s2
	global_load_b128 v[72:75], v[13:14], off
	v_add_co_u32 v13, s2, v6, s12
	s_delay_alu instid0(VALU_DEP_1) | instskip(SKIP_2) | instid1(VALU_DEP_1)
	v_add_co_ci_u32_e64 v14, s2, s13, v7, s2
	global_load_b128 v[76:79], v[15:16], off
	v_add_co_u32 v15, s2, v13, s12
	v_add_co_ci_u32_e64 v16, s2, s13, v14, s2
	global_load_b128 v[80:83], v[17:18], off
	v_add_co_u32 v17, s2, v15, s12
	s_delay_alu instid0(VALU_DEP_1)
	v_add_co_ci_u32_e64 v18, s2, s13, v16, s2
	s_waitcnt vmcnt(4)
	global_load_b128 v[64:67], v[21:22], off offset:1088
	global_load_b128 v[84:87], v[19:20], off
	global_load_b128 v[88:91], v[6:7], off
	;; [unrolled: 1-line block ×5, first 2 shown]
	v_add_co_u32 v6, s2, v17, s12
	s_delay_alu instid0(VALU_DEP_1) | instskip(SKIP_1) | instid1(VALU_DEP_1)
	v_add_co_ci_u32_e64 v7, s2, s13, v18, s2
	v_add_co_u32 v13, s2, 0x3000, v0
	v_add_co_ci_u32_e64 v14, s2, 0, v1, s2
	s_delay_alu instid0(VALU_DEP_4) | instskip(NEXT) | instid1(VALU_DEP_1)
	v_add_co_u32 v15, s2, v6, s12
	v_add_co_ci_u32_e64 v16, s2, s13, v7, s2
	global_load_b128 v[104:107], v[21:22], off offset:2288
	global_load_b128 v[108:111], v[6:7], off
	s_clause 0x1
	global_load_b128 v[112:115], v[21:22], off offset:3488
	global_load_b128 v[116:119], v[13:14], off offset:592
	global_load_b128 v[120:123], v[15:16], off
	s_waitcnt vmcnt(14)
	v_mul_f64 v[6:7], v[70:71], v[4:5]
	v_mul_f64 v[13:14], v[68:69], v[4:5]
	s_waitcnt vmcnt(13)
	v_mul_f64 v[15:16], v[74:75], v[11:12]
	v_mul_f64 v[17:18], v[72:73], v[11:12]
	;; [unrolled: 3-line block ×4, first 2 shown]
	v_fma_f64 v[4:5], v[68:69], v[2:3], v[6:7]
	v_fma_f64 v[6:7], v[70:71], v[2:3], -v[13:14]
	v_fma_f64 v[11:12], v[72:73], v[9:10], v[15:16]
	v_fma_f64 v[13:14], v[74:75], v[9:10], -v[17:18]
	v_fma_f64 v[68:69], v[78:79], v[44:45], -v[21:22]
	v_fma_f64 v[46:47], v[82:83], v[48:49], -v[25:26]
	s_waitcnt vmcnt(9)
	v_mul_f64 v[27:28], v[86:87], v[54:55]
	v_mul_f64 v[29:30], v[84:85], v[54:55]
	s_waitcnt vmcnt(8)
	v_mul_f64 v[31:32], v[90:91], v[58:59]
	v_mul_f64 v[33:34], v[88:89], v[58:59]
	;; [unrolled: 3-line block ×4, first 2 shown]
	v_fma_f64 v[66:67], v[76:77], v[44:45], v[19:20]
	v_fma_f64 v[44:45], v[80:81], v[48:49], v[23:24]
	s_waitcnt vmcnt(4)
	v_mul_f64 v[124:125], v[102:103], v[106:107]
	v_mul_f64 v[106:107], v[100:101], v[106:107]
	s_waitcnt vmcnt(2)
	v_mul_f64 v[126:127], v[110:111], v[114:115]
	v_mul_f64 v[114:115], v[108:109], v[114:115]
	;; [unrolled: 3-line block ×3, first 2 shown]
	v_fma_f64 v[48:49], v[84:85], v[52:53], v[27:28]
	v_fma_f64 v[50:51], v[86:87], v[52:53], -v[29:30]
	v_fma_f64 v[52:53], v[88:89], v[56:57], v[31:32]
	v_fma_f64 v[54:55], v[90:91], v[56:57], -v[33:34]
	;; [unrolled: 2-line block ×7, first 2 shown]
	ds_store_b128 v8, v[4:7] offset:880
	ds_store_b128 v8, v[11:14] offset:2080
	;; [unrolled: 1-line block ×11, first 2 shown]
.LBB0_3:
	s_or_b32 exec_lo, exec_lo, s3
	s_waitcnt lgkmcnt(0)
	s_waitcnt_vscnt null, 0x0
	s_barrier
	buffer_gl0_inv
	ds_load_b128 v[64:67], v8
	ds_load_b128 v[72:75], v8 offset:1200
	ds_load_b128 v[80:83], v8 offset:2400
	;; [unrolled: 1-line block ×10, first 2 shown]
	s_load_b64 s[2:3], s[0:1], 0x8
                                        ; implicit-def: $vgpr44_vgpr45
                                        ; implicit-def: $vgpr48_vgpr49
                                        ; implicit-def: $vgpr92_vgpr93
                                        ; implicit-def: $vgpr104_vgpr105
                                        ; implicit-def: $vgpr112_vgpr113
                                        ; implicit-def: $vgpr108_vgpr109
                                        ; implicit-def: $vgpr100_vgpr101
                                        ; implicit-def: $vgpr96_vgpr97
                                        ; implicit-def: $vgpr56_vgpr57
                                        ; implicit-def: $vgpr52_vgpr53
                                        ; implicit-def: $vgpr60_vgpr61
	s_and_saveexec_b32 s0, vcc_lo
	s_cbranch_execz .LBB0_5
; %bb.4:
	ds_load_b128 v[44:47], v8 offset:880
	ds_load_b128 v[48:51], v8 offset:2080
	;; [unrolled: 1-line block ×11, first 2 shown]
.LBB0_5:
	s_or_b32 exec_lo, exec_lo, s0
	s_waitcnt lgkmcnt(0)
	v_add_f64 v[2:3], v[64:65], v[72:73]
	v_add_f64 v[4:5], v[66:67], v[74:75]
	v_add_f64 v[9:10], v[74:75], -v[70:71]
	s_mov_b32 s24, 0xf8bb580b
	s_mov_b32 s26, 0x8eee2c13
	;; [unrolled: 1-line block ×10, first 2 shown]
	v_add_f64 v[142:143], v[120:121], v[116:117]
	v_add_f64 v[144:145], v[122:123], v[118:119]
	v_add_f64 v[146:147], v[120:121], -v[116:117]
	v_add_f64 v[148:149], v[122:123], -v[118:119]
	v_add_f64 v[11:12], v[72:73], v[68:69]
	v_add_f64 v[15:16], v[72:73], -v[68:69]
	s_mov_b32 s0, 0x8764f0ba
	s_mov_b32 s16, 0xd9c712b6
	;; [unrolled: 1-line block ×10, first 2 shown]
	v_add_f64 v[13:14], v[74:75], v[70:71]
	v_add_f64 v[152:153], v[90:91], v[86:87]
	;; [unrolled: 1-line block ×3, first 2 shown]
	v_add_f64 v[140:141], v[130:131], -v[126:127]
	v_add_f64 v[138:139], v[128:129], -v[124:125]
	v_add_f64 v[136:137], v[130:131], v[126:127]
	s_mov_b32 s35, 0x3fd207e7
	s_mov_b32 s34, s22
	;; [unrolled: 1-line block ×3, first 2 shown]
	v_add_f64 v[2:3], v[2:3], v[80:81]
	v_add_f64 v[4:5], v[4:5], v[82:83]
	v_mul_f64 v[17:18], v[9:10], s[18:19]
	v_mul_f64 v[19:20], v[9:10], s[20:21]
	s_mov_b32 s30, s18
	s_mov_b32 s29, 0x3fe14ced
	;; [unrolled: 1-line block ×5, first 2 shown]
	v_add_f64 v[164:165], v[48:49], v[60:61]
	v_add_f64 v[160:161], v[92:93], v[52:53]
	;; [unrolled: 1-line block ×7, first 2 shown]
	v_mul_f64 v[31:32], v[15:16], s[26:27]
	v_mul_f64 v[33:34], v[15:16], s[18:19]
	;; [unrolled: 1-line block ×3, first 2 shown]
	v_add_f64 v[2:3], v[2:3], v[88:89]
	v_add_f64 v[4:5], v[4:5], v[90:91]
	v_fma_f64 v[25:26], v[11:12], s[14:15], -v[17:18]
	v_fma_f64 v[17:18], v[11:12], s[14:15], v[17:18]
	v_fma_f64 v[27:28], v[11:12], s[8:9], -v[19:20]
	v_fma_f64 v[19:20], v[11:12], s[8:9], v[19:20]
	v_add_f64 v[90:91], v[90:91], -v[86:87]
	v_add_f64 v[88:89], v[88:89], -v[84:85]
	v_fma_f64 v[39:40], v[13:14], s[16:17], v[31:32]
	v_fma_f64 v[31:32], v[13:14], s[16:17], -v[31:32]
	v_fma_f64 v[41:42], v[13:14], s[14:15], v[33:34]
	v_fma_f64 v[33:34], v[13:14], s[14:15], -v[33:34]
	v_add_f64 v[2:3], v[2:3], v[120:121]
	v_add_f64 v[4:5], v[4:5], v[122:123]
	;; [unrolled: 1-line block ×11, first 2 shown]
	s_delay_alu instid0(VALU_DEP_3) | instskip(NEXT) | instid1(VALU_DEP_3)
	v_add_f64 v[6:7], v[6:7], v[124:125]
	v_add_f64 v[4:5], v[4:5], v[126:127]
	s_delay_alu instid0(VALU_DEP_2) | instskip(NEXT) | instid1(VALU_DEP_2)
	v_add_f64 v[6:7], v[6:7], v[116:117]
	v_add_f64 v[4:5], v[4:5], v[118:119]
	s_delay_alu instid0(VALU_DEP_2) | instskip(NEXT) | instid1(VALU_DEP_2)
	v_add_f64 v[6:7], v[6:7], v[84:85]
	v_add_f64 v[4:5], v[4:5], v[86:87]
	;; [unrolled: 1-line block ×3, first 2 shown]
	v_add_f64 v[82:83], v[82:83], -v[78:79]
	v_add_f64 v[84:85], v[80:81], v[76:77]
	v_add_f64 v[80:81], v[80:81], -v[76:77]
	v_add_f64 v[6:7], v[6:7], v[76:77]
	v_add_f64 v[4:5], v[4:5], v[78:79]
	s_delay_alu instid0(VALU_DEP_2) | instskip(NEXT) | instid1(VALU_DEP_2)
	v_add_f64 v[116:117], v[6:7], v[68:69]
	v_add_f64 v[118:119], v[4:5], v[70:71]
	v_mul_f64 v[4:5], v[9:10], s[24:25]
	v_mul_f64 v[6:7], v[9:10], s[26:27]
	v_mul_f64 v[9:10], v[9:10], s[22:23]
	v_fma_f64 v[68:69], v[13:14], s[8:9], v[35:36]
	v_fma_f64 v[35:36], v[13:14], s[8:9], -v[35:36]
	v_fma_f64 v[21:22], v[11:12], s[0:1], -v[4:5]
	v_fma_f64 v[4:5], v[11:12], s[0:1], v[4:5]
	v_fma_f64 v[23:24], v[11:12], s[16:17], -v[6:7]
	v_fma_f64 v[6:7], v[11:12], s[16:17], v[6:7]
	;; [unrolled: 2-line block ×3, first 2 shown]
	v_mul_f64 v[11:12], v[15:16], s[24:25]
	v_mul_f64 v[15:16], v[15:16], s[22:23]
	v_add_f64 v[35:36], v[66:67], v[35:36]
	v_add_f64 v[4:5], v[64:65], v[4:5]
	;; [unrolled: 1-line block ×6, first 2 shown]
	v_fma_f64 v[37:38], v[13:14], s[0:1], v[11:12]
	v_fma_f64 v[11:12], v[13:14], s[0:1], -v[11:12]
	v_fma_f64 v[70:71], v[13:14], s[12:13], v[15:16]
	v_fma_f64 v[13:14], v[13:14], s[12:13], -v[15:16]
	v_add_f64 v[15:16], v[64:65], v[21:22]
	v_add_f64 v[21:22], v[66:67], v[37:38]
	;; [unrolled: 1-line block ×5, first 2 shown]
	v_mul_f64 v[13:14], v[82:83], s[26:27]
	v_add_f64 v[39:40], v[66:67], v[41:42]
	v_add_f64 v[41:42], v[66:67], v[68:69]
	;; [unrolled: 1-line block ×3, first 2 shown]
	s_delay_alu instid0(VALU_DEP_4) | instskip(SKIP_1) | instid1(VALU_DEP_2)
	v_fma_f64 v[66:67], v[84:85], s[16:17], -v[13:14]
	v_fma_f64 v[13:14], v[84:85], s[16:17], v[13:14]
	v_add_f64 v[15:16], v[66:67], v[15:16]
	v_mul_f64 v[66:67], v[80:81], s[26:27]
	s_delay_alu instid0(VALU_DEP_3) | instskip(NEXT) | instid1(VALU_DEP_2)
	v_add_f64 v[4:5], v[13:14], v[4:5]
	v_fma_f64 v[70:71], v[86:87], s[16:17], v[66:67]
	v_fma_f64 v[13:14], v[86:87], s[16:17], -v[66:67]
	s_delay_alu instid0(VALU_DEP_2) | instskip(SKIP_1) | instid1(VALU_DEP_3)
	v_add_f64 v[21:22], v[70:71], v[21:22]
	v_mul_f64 v[70:71], v[90:91], s[18:19]
	v_add_f64 v[11:12], v[13:14], v[11:12]
	s_delay_alu instid0(VALU_DEP_2) | instskip(SKIP_1) | instid1(VALU_DEP_2)
	v_fma_f64 v[72:73], v[150:151], s[14:15], -v[70:71]
	v_fma_f64 v[13:14], v[150:151], s[14:15], v[70:71]
	v_add_f64 v[15:16], v[72:73], v[15:16]
	v_mul_f64 v[72:73], v[88:89], s[18:19]
	s_delay_alu instid0(VALU_DEP_3) | instskip(NEXT) | instid1(VALU_DEP_2)
	v_add_f64 v[4:5], v[13:14], v[4:5]
	v_fma_f64 v[74:75], v[152:153], s[14:15], v[72:73]
	v_fma_f64 v[13:14], v[152:153], s[14:15], -v[72:73]
	s_delay_alu instid0(VALU_DEP_2) | instskip(SKIP_1) | instid1(VALU_DEP_3)
	v_add_f64 v[21:22], v[74:75], v[21:22]
	v_mul_f64 v[74:75], v[148:149], s[20:21]
	v_add_f64 v[11:12], v[13:14], v[11:12]
	s_delay_alu instid0(VALU_DEP_2) | instskip(SKIP_1) | instid1(VALU_DEP_2)
	;; [unrolled: 13-line block ×3, first 2 shown]
	v_fma_f64 v[120:121], v[2:3], s[12:13], -v[78:79]
	v_fma_f64 v[13:14], v[2:3], s[12:13], v[78:79]
	v_add_f64 v[124:125], v[120:121], v[15:16]
	v_mul_f64 v[15:16], v[138:139], s[22:23]
	s_delay_alu instid0(VALU_DEP_1) | instskip(SKIP_1) | instid1(VALU_DEP_2)
	v_fma_f64 v[120:121], v[136:137], s[12:13], v[15:16]
	v_fma_f64 v[15:16], v[136:137], s[12:13], -v[15:16]
	v_add_f64 v[126:127], v[120:121], v[21:22]
	v_add_f64 v[120:121], v[13:14], v[4:5]
	v_mul_f64 v[4:5], v[82:83], s[20:21]
	s_delay_alu instid0(VALU_DEP_4) | instskip(SKIP_2) | instid1(VALU_DEP_4)
	v_add_f64 v[122:123], v[15:16], v[11:12]
	v_mul_f64 v[21:22], v[90:91], s[34:35]
	v_mul_f64 v[13:14], v[80:81], s[20:21]
	v_fma_f64 v[11:12], v[84:85], s[8:9], -v[4:5]
	v_fma_f64 v[4:5], v[84:85], s[8:9], v[4:5]
	s_delay_alu instid0(VALU_DEP_3) | instskip(NEXT) | instid1(VALU_DEP_3)
	v_fma_f64 v[15:16], v[86:87], s[8:9], v[13:14]
	v_add_f64 v[11:12], v[11:12], v[23:24]
	v_fma_f64 v[23:24], v[150:151], s[12:13], -v[21:22]
	s_delay_alu instid0(VALU_DEP_4) | instskip(NEXT) | instid1(VALU_DEP_4)
	v_add_f64 v[4:5], v[4:5], v[6:7]
	v_add_f64 v[15:16], v[15:16], v[37:38]
	v_fma_f64 v[6:7], v[86:87], s[8:9], -v[13:14]
	v_fma_f64 v[13:14], v[150:151], s[12:13], v[21:22]
	v_mul_f64 v[21:22], v[80:81], s[34:35]
	v_add_f64 v[11:12], v[23:24], v[11:12]
	v_mul_f64 v[23:24], v[88:89], s[34:35]
	v_add_f64 v[6:7], v[6:7], v[31:32]
	v_add_f64 v[4:5], v[13:14], v[4:5]
	v_mul_f64 v[31:32], v[148:149], s[24:25]
	s_delay_alu instid0(VALU_DEP_4) | instskip(SKIP_2) | instid1(VALU_DEP_3)
	v_fma_f64 v[37:38], v[152:153], s[12:13], v[23:24]
	v_fma_f64 v[13:14], v[152:153], s[12:13], -v[23:24]
	v_mul_f64 v[23:24], v[90:91], s[36:37]
	v_add_f64 v[15:16], v[37:38], v[15:16]
	v_mul_f64 v[37:38], v[148:149], s[30:31]
	s_delay_alu instid0(VALU_DEP_4) | instskip(NEXT) | instid1(VALU_DEP_2)
	v_add_f64 v[6:7], v[13:14], v[6:7]
	v_fma_f64 v[66:67], v[142:143], s[14:15], -v[37:38]
	v_fma_f64 v[13:14], v[142:143], s[14:15], v[37:38]
	v_mul_f64 v[37:38], v[146:147], s[24:25]
	s_delay_alu instid0(VALU_DEP_3) | instskip(SKIP_1) | instid1(VALU_DEP_4)
	v_add_f64 v[11:12], v[66:67], v[11:12]
	v_mul_f64 v[66:67], v[146:147], s[30:31]
	v_add_f64 v[4:5], v[13:14], v[4:5]
	s_delay_alu instid0(VALU_DEP_2) | instskip(SKIP_1) | instid1(VALU_DEP_2)
	v_fma_f64 v[70:71], v[144:145], s[14:15], v[66:67]
	v_fma_f64 v[13:14], v[144:145], s[14:15], -v[66:67]
	v_add_f64 v[15:16], v[70:71], v[15:16]
	v_mul_f64 v[70:71], v[140:141], s[28:29]
	s_delay_alu instid0(VALU_DEP_3) | instskip(NEXT) | instid1(VALU_DEP_2)
	v_add_f64 v[6:7], v[13:14], v[6:7]
	v_fma_f64 v[72:73], v[2:3], s[0:1], -v[70:71]
	v_fma_f64 v[13:14], v[2:3], s[0:1], v[70:71]
	s_delay_alu instid0(VALU_DEP_2) | instskip(SKIP_1) | instid1(VALU_DEP_3)
	v_add_f64 v[128:129], v[72:73], v[11:12]
	v_mul_f64 v[11:12], v[138:139], s[28:29]
	v_add_f64 v[132:133], v[13:14], v[4:5]
	v_mul_f64 v[4:5], v[82:83], s[34:35]
	v_fma_f64 v[13:14], v[150:151], s[16:17], -v[23:24]
	s_delay_alu instid0(VALU_DEP_4) | instskip(SKIP_1) | instid1(VALU_DEP_2)
	v_fma_f64 v[72:73], v[136:137], s[0:1], v[11:12]
	v_fma_f64 v[11:12], v[136:137], s[0:1], -v[11:12]
	v_add_f64 v[130:131], v[72:73], v[15:16]
	s_delay_alu instid0(VALU_DEP_2) | instskip(SKIP_3) | instid1(VALU_DEP_3)
	v_add_f64 v[134:135], v[11:12], v[6:7]
	v_fma_f64 v[6:7], v[84:85], s[12:13], -v[4:5]
	v_fma_f64 v[11:12], v[86:87], s[12:13], v[21:22]
	v_fma_f64 v[4:5], v[84:85], s[12:13], v[4:5]
	v_add_f64 v[6:7], v[6:7], v[25:26]
	v_mul_f64 v[25:26], v[88:89], s[36:37]
	s_delay_alu instid0(VALU_DEP_4) | instskip(NEXT) | instid1(VALU_DEP_4)
	v_add_f64 v[11:12], v[11:12], v[39:40]
	v_add_f64 v[4:5], v[4:5], v[17:18]
	v_fma_f64 v[16:17], v[86:87], s[12:13], -v[21:22]
	v_fma_f64 v[21:22], v[150:151], s[16:17], v[23:24]
	v_mul_f64 v[39:40], v[140:141], s[20:21]
	v_mul_f64 v[23:24], v[90:91], s[24:25]
	v_add_f64 v[6:7], v[13:14], v[6:7]
	v_fma_f64 v[13:14], v[152:153], s[16:17], v[25:26]
	v_add_f64 v[16:17], v[16:17], v[33:34]
	v_add_f64 v[4:5], v[21:22], v[4:5]
	v_fma_f64 v[21:22], v[152:153], s[16:17], -v[25:26]
	v_fma_f64 v[25:26], v[150:151], s[0:1], -v[23:24]
	v_add_f64 v[11:12], v[13:14], v[11:12]
	v_fma_f64 v[13:14], v[142:143], s[0:1], -v[31:32]
	s_delay_alu instid0(VALU_DEP_4) | instskip(SKIP_1) | instid1(VALU_DEP_3)
	v_add_f64 v[16:17], v[21:22], v[16:17]
	v_fma_f64 v[21:22], v[142:143], s[0:1], v[31:32]
	v_add_f64 v[6:7], v[13:14], v[6:7]
	v_fma_f64 v[13:14], v[144:145], s[0:1], v[37:38]
	s_delay_alu instid0(VALU_DEP_3) | instskip(SKIP_1) | instid1(VALU_DEP_3)
	v_add_f64 v[4:5], v[21:22], v[4:5]
	v_fma_f64 v[21:22], v[144:145], s[0:1], -v[37:38]
	v_add_f64 v[14:15], v[13:14], v[11:12]
	v_fma_f64 v[11:12], v[2:3], s[8:9], -v[39:40]
	s_delay_alu instid0(VALU_DEP_3) | instskip(SKIP_1) | instid1(VALU_DEP_3)
	v_add_f64 v[16:17], v[21:22], v[16:17]
	v_fma_f64 v[21:22], v[2:3], s[8:9], v[39:40]
	v_add_f64 v[12:13], v[11:12], v[6:7]
	v_mul_f64 v[6:7], v[138:139], s[20:21]
	s_delay_alu instid0(VALU_DEP_3) | instskip(SKIP_1) | instid1(VALU_DEP_3)
	v_add_f64 v[210:211], v[21:22], v[4:5]
	v_mul_f64 v[4:5], v[82:83], s[30:31]
	v_fma_f64 v[66:67], v[136:137], s[8:9], v[6:7]
	v_fma_f64 v[6:7], v[136:137], s[8:9], -v[6:7]
	s_delay_alu instid0(VALU_DEP_2) | instskip(NEXT) | instid1(VALU_DEP_2)
	v_add_f64 v[14:15], v[66:67], v[14:15]
	v_add_f64 v[212:213], v[6:7], v[16:17]
	v_fma_f64 v[6:7], v[84:85], s[14:15], -v[4:5]
	v_mul_f64 v[16:17], v[80:81], s[30:31]
	v_fma_f64 v[4:5], v[84:85], s[14:15], v[4:5]
	s_delay_alu instid0(VALU_DEP_3) | instskip(NEXT) | instid1(VALU_DEP_3)
	v_add_f64 v[6:7], v[6:7], v[27:28]
	v_fma_f64 v[21:22], v[86:87], s[14:15], v[16:17]
	s_delay_alu instid0(VALU_DEP_3)
	v_add_f64 v[4:5], v[4:5], v[19:20]
	v_fma_f64 v[16:17], v[86:87], s[14:15], -v[16:17]
	v_fma_f64 v[18:19], v[150:151], s[0:1], v[23:24]
	v_add_f64 v[6:7], v[25:26], v[6:7]
	v_mul_f64 v[25:26], v[88:89], s[24:25]
	v_add_f64 v[21:22], v[21:22], v[41:42]
	v_add_f64 v[16:17], v[16:17], v[35:36]
	;; [unrolled: 1-line block ×3, first 2 shown]
	s_delay_alu instid0(VALU_DEP_4) | instskip(SKIP_1) | instid1(VALU_DEP_2)
	v_fma_f64 v[27:28], v[152:153], s[0:1], v[25:26]
	v_fma_f64 v[18:19], v[152:153], s[0:1], -v[25:26]
	v_add_f64 v[21:22], v[27:28], v[21:22]
	v_mul_f64 v[27:28], v[148:149], s[22:23]
	s_delay_alu instid0(VALU_DEP_3) | instskip(NEXT) | instid1(VALU_DEP_2)
	v_add_f64 v[16:17], v[18:19], v[16:17]
	v_fma_f64 v[31:32], v[142:143], s[12:13], -v[27:28]
	v_fma_f64 v[18:19], v[142:143], s[12:13], v[27:28]
	s_delay_alu instid0(VALU_DEP_2) | instskip(SKIP_1) | instid1(VALU_DEP_3)
	v_add_f64 v[6:7], v[31:32], v[6:7]
	v_mul_f64 v[31:32], v[146:147], s[22:23]
	v_add_f64 v[4:5], v[18:19], v[4:5]
	s_delay_alu instid0(VALU_DEP_2) | instskip(SKIP_1) | instid1(VALU_DEP_2)
	v_fma_f64 v[33:34], v[144:145], s[12:13], v[31:32]
	v_fma_f64 v[18:19], v[144:145], s[12:13], -v[31:32]
	v_add_f64 v[21:22], v[33:34], v[21:22]
	v_mul_f64 v[33:34], v[140:141], s[36:37]
	s_delay_alu instid0(VALU_DEP_3) | instskip(NEXT) | instid1(VALU_DEP_2)
	v_add_f64 v[16:17], v[18:19], v[16:17]
	v_fma_f64 v[37:38], v[2:3], s[16:17], -v[33:34]
	v_fma_f64 v[18:19], v[2:3], s[16:17], v[33:34]
	v_add_f64 v[34:35], v[110:111], -v[102:103]
	s_delay_alu instid0(VALU_DEP_3) | instskip(SKIP_1) | instid1(VALU_DEP_4)
	v_add_f64 v[214:215], v[37:38], v[6:7]
	v_mul_f64 v[6:7], v[138:139], s[36:37]
	v_add_f64 v[218:219], v[18:19], v[4:5]
	v_mul_f64 v[4:5], v[82:83], s[28:29]
	v_mul_f64 v[154:155], v[34:35], s[28:29]
	;; [unrolled: 1-line block ×3, first 2 shown]
	v_fma_f64 v[37:38], v[136:137], s[16:17], v[6:7]
	v_fma_f64 v[6:7], v[136:137], s[16:17], -v[6:7]
	s_delay_alu instid0(VALU_DEP_2) | instskip(NEXT) | instid1(VALU_DEP_2)
	v_add_f64 v[216:217], v[37:38], v[21:22]
	v_add_f64 v[220:221], v[6:7], v[16:17]
	v_fma_f64 v[6:7], v[84:85], s[0:1], -v[4:5]
	v_mul_f64 v[20:21], v[90:91], s[20:21]
	v_mul_f64 v[16:17], v[80:81], s[28:29]
	v_fma_f64 v[4:5], v[84:85], s[0:1], v[4:5]
	v_mul_f64 v[90:91], v[34:35], s[36:37]
	v_add_f64 v[6:7], v[6:7], v[29:30]
	v_fma_f64 v[22:23], v[150:151], s[8:9], -v[20:21]
	v_fma_f64 v[18:19], v[86:87], s[0:1], v[16:17]
	v_mul_f64 v[30:31], v[138:139], s[18:19]
	v_add_f64 v[4:5], v[4:5], v[9:10]
	s_delay_alu instid0(VALU_DEP_4) | instskip(SKIP_2) | instid1(VALU_DEP_2)
	v_add_f64 v[6:7], v[22:23], v[6:7]
	v_mul_f64 v[22:23], v[88:89], s[20:21]
	v_add_f64 v[18:19], v[18:19], v[68:69]
	v_fma_f64 v[24:25], v[152:153], s[8:9], v[22:23]
	s_delay_alu instid0(VALU_DEP_1) | instskip(SKIP_1) | instid1(VALU_DEP_1)
	v_add_f64 v[18:19], v[24:25], v[18:19]
	v_mul_f64 v[24:25], v[148:149], s[36:37]
	v_fma_f64 v[26:27], v[142:143], s[16:17], -v[24:25]
	v_fma_f64 v[9:10], v[142:143], s[16:17], v[24:25]
	v_add_f64 v[24:25], v[104:105], -v[56:57]
	s_delay_alu instid0(VALU_DEP_3) | instskip(SKIP_1) | instid1(VALU_DEP_3)
	v_add_f64 v[6:7], v[26:27], v[6:7]
	v_mul_f64 v[26:27], v[146:147], s[36:37]
	v_mul_f64 v[142:143], v[24:25], s[18:19]
	v_add_f64 v[146:147], v[110:111], v[102:103]
	v_mul_f64 v[180:181], v[24:25], s[34:35]
	v_mul_f64 v[200:201], v[24:25], s[36:37]
	;; [unrolled: 1-line block ×4, first 2 shown]
	v_fma_f64 v[28:29], v[144:145], s[16:17], v[26:27]
	s_delay_alu instid0(VALU_DEP_1) | instskip(SKIP_1) | instid1(VALU_DEP_1)
	v_add_f64 v[18:19], v[28:29], v[18:19]
	v_mul_f64 v[28:29], v[140:141], s[18:19]
	v_fma_f64 v[32:33], v[2:3], s[14:15], -v[28:29]
	v_fma_f64 v[2:3], v[2:3], s[14:15], v[28:29]
	s_delay_alu instid0(VALU_DEP_2) | instskip(SKIP_1) | instid1(VALU_DEP_1)
	v_add_f64 v[222:223], v[32:33], v[6:7]
	v_fma_f64 v[6:7], v[136:137], s[14:15], v[30:31]
	v_add_f64 v[224:225], v[6:7], v[18:19]
	v_fma_f64 v[6:7], v[86:87], s[0:1], -v[16:17]
	v_fma_f64 v[16:17], v[150:151], s[8:9], v[20:21]
	v_fma_f64 v[18:19], v[152:153], s[8:9], -v[22:23]
	v_fma_f64 v[20:21], v[144:145], s[16:17], -v[26:27]
	v_add_f64 v[22:23], v[106:107], -v[58:59]
	v_add_f64 v[26:27], v[114:115], -v[98:99]
	v_add_f64 v[152:153], v[112:113], v[96:97]
	v_add_f64 v[144:145], v[108:109], v[100:101]
	;; [unrolled: 1-line block ×4, first 2 shown]
	v_fma_f64 v[16:17], v[136:137], s[14:15], -v[30:31]
	v_add_f64 v[30:31], v[112:113], -v[96:97]
	v_mul_f64 v[138:139], v[22:23], s[18:19]
	v_mul_f64 v[178:179], v[22:23], s[34:35]
	;; [unrolled: 1-line block ×8, first 2 shown]
	v_add_f64 v[6:7], v[18:19], v[6:7]
	v_add_f64 v[4:5], v[9:10], v[4:5]
	v_add_f64 v[9:10], v[50:51], -v[62:63]
	v_add_f64 v[18:19], v[48:49], -v[60:61]
	v_mul_f64 v[136:137], v[30:31], s[20:21]
	v_mul_f64 v[172:173], v[30:31], s[30:31]
	v_mul_f64 v[194:195], v[30:31], s[24:25]
	v_mul_f64 v[88:89], v[30:31], s[22:23]
	v_mul_f64 v[30:31], v[30:31], s[36:37]
	v_add_f64 v[6:7], v[20:21], v[6:7]
	v_add_f64 v[226:227], v[2:3], v[4:5]
	v_mul_f64 v[148:149], v[9:10], s[24:25]
	v_mul_f64 v[162:163], v[18:19], s[24:25]
	v_add_f64 v[20:21], v[92:93], -v[52:53]
	v_mul_f64 v[192:193], v[9:10], s[26:27]
	v_mul_f64 v[196:197], v[18:19], s[26:27]
	;; [unrolled: 1-line block ×4, first 2 shown]
	v_add_f64 v[228:229], v[16:17], v[6:7]
	v_add_f64 v[16:17], v[94:95], -v[54:55]
	v_fma_f64 v[2:3], v[164:165], s[0:1], v[148:149]
	v_mul_f64 v[150:151], v[20:21], s[26:27]
	v_mul_f64 v[188:189], v[20:21], s[20:21]
	;; [unrolled: 1-line block ×6, first 2 shown]
	v_add_f64 v[2:3], v[44:45], v[2:3]
	v_mul_f64 v[184:185], v[16:17], s[20:21]
	v_fma_f64 v[6:7], v[174:175], s[16:17], -v[150:151]
	v_mul_f64 v[202:203], v[16:17], s[34:35]
	v_fma_f64 v[76:77], v[174:175], s[14:15], v[80:81]
	v_fma_f64 v[4:5], v[160:161], s[16:17], v[140:141]
	s_delay_alu instid0(VALU_DEP_1) | instskip(SKIP_1) | instid1(VALU_DEP_1)
	v_add_f64 v[2:3], v[4:5], v[2:3]
	v_fma_f64 v[4:5], v[176:177], s[0:1], -v[162:163]
	v_add_f64 v[4:5], v[46:47], v[4:5]
	s_delay_alu instid0(VALU_DEP_1) | instskip(SKIP_1) | instid1(VALU_DEP_1)
	v_add_f64 v[4:5], v[6:7], v[4:5]
	v_fma_f64 v[6:7], v[166:167], s[14:15], v[138:139]
	v_add_f64 v[2:3], v[6:7], v[2:3]
	v_fma_f64 v[6:7], v[170:171], s[14:15], -v[142:143]
	s_delay_alu instid0(VALU_DEP_1) | instskip(SKIP_2) | instid1(VALU_DEP_2)
	v_add_f64 v[6:7], v[6:7], v[4:5]
	v_mul_f64 v[4:5], v[26:27], s[20:21]
	v_mul_f64 v[26:27], v[26:27], s[36:37]
	v_fma_f64 v[28:29], v[152:153], s[8:9], v[4:5]
	s_delay_alu instid0(VALU_DEP_1) | instskip(SKIP_1) | instid1(VALU_DEP_1)
	v_add_f64 v[28:29], v[28:29], v[2:3]
	v_fma_f64 v[2:3], v[156:157], s[8:9], -v[136:137]
	v_add_f64 v[32:33], v[2:3], v[6:7]
	v_mul_f64 v[2:3], v[34:35], s[22:23]
	v_mul_f64 v[34:35], v[34:35], s[18:19]
	s_delay_alu instid0(VALU_DEP_2) | instskip(NEXT) | instid1(VALU_DEP_1)
	v_fma_f64 v[6:7], v[144:145], s[12:13], v[2:3]
	v_add_f64 v[38:39], v[6:7], v[28:29]
	v_add_f64 v[28:29], v[108:109], -v[100:101]
	s_delay_alu instid0(VALU_DEP_1) | instskip(SKIP_2) | instid1(VALU_DEP_3)
	v_mul_f64 v[6:7], v[28:29], s[22:23]
	v_mul_f64 v[158:159], v[28:29], s[28:29]
	;; [unrolled: 1-line block ×3, first 2 shown]
	v_fma_f64 v[36:37], v[146:147], s[12:13], -v[6:7]
	s_delay_alu instid0(VALU_DEP_1)
	v_add_f64 v[40:41], v[36:37], v[32:33]
	v_fma_f64 v[32:33], v[164:165], s[16:17], v[192:193]
	v_fma_f64 v[36:37], v[160:161], s[8:9], v[184:185]
	scratch_store_b128 off, v[38:41], off offset:4 ; 16-byte Folded Spill
	v_add_f64 v[32:33], v[44:45], v[32:33]
	v_fma_f64 v[38:39], v[174:175], s[8:9], -v[188:189]
	s_delay_alu instid0(VALU_DEP_2) | instskip(SKIP_1) | instid1(VALU_DEP_1)
	v_add_f64 v[32:33], v[36:37], v[32:33]
	v_fma_f64 v[36:37], v[176:177], s[16:17], -v[196:197]
	v_add_f64 v[36:37], v[46:47], v[36:37]
	s_delay_alu instid0(VALU_DEP_1) | instskip(SKIP_1) | instid1(VALU_DEP_1)
	v_add_f64 v[36:37], v[38:39], v[36:37]
	v_fma_f64 v[38:39], v[166:167], s[12:13], v[178:179]
	v_add_f64 v[32:33], v[38:39], v[32:33]
	v_fma_f64 v[38:39], v[170:171], s[12:13], -v[180:181]
	s_delay_alu instid0(VALU_DEP_1) | instskip(SKIP_1) | instid1(VALU_DEP_1)
	v_add_f64 v[36:37], v[38:39], v[36:37]
	v_fma_f64 v[38:39], v[152:153], s[14:15], v[168:169]
	v_add_f64 v[32:33], v[38:39], v[32:33]
	v_fma_f64 v[38:39], v[156:157], s[14:15], -v[172:173]
	;; [unrolled: 5-line block ×3, first 2 shown]
	s_delay_alu instid0(VALU_DEP_1)
	v_add_f64 v[40:41], v[32:33], v[36:37]
	v_fma_f64 v[32:33], v[164:165], s[14:15], v[206:207]
	v_fma_f64 v[36:37], v[160:161], s[12:13], v[202:203]
	scratch_store_b128 off, v[38:41], off offset:20 ; 16-byte Folded Spill
	v_add_f64 v[32:33], v[44:45], v[32:33]
	v_fma_f64 v[38:39], v[174:175], s[12:13], -v[204:205]
	s_delay_alu instid0(VALU_DEP_2) | instskip(SKIP_1) | instid1(VALU_DEP_1)
	v_add_f64 v[32:33], v[36:37], v[32:33]
	v_fma_f64 v[36:37], v[176:177], s[14:15], -v[208:209]
	v_add_f64 v[36:37], v[46:47], v[36:37]
	s_delay_alu instid0(VALU_DEP_1) | instskip(SKIP_1) | instid1(VALU_DEP_1)
	v_add_f64 v[36:37], v[38:39], v[36:37]
	v_fma_f64 v[38:39], v[166:167], s[16:17], v[198:199]
	v_add_f64 v[32:33], v[38:39], v[32:33]
	v_fma_f64 v[38:39], v[170:171], s[16:17], -v[200:201]
	s_delay_alu instid0(VALU_DEP_1) | instskip(SKIP_1) | instid1(VALU_DEP_1)
	v_add_f64 v[36:37], v[38:39], v[36:37]
	v_fma_f64 v[38:39], v[152:153], s[0:1], v[190:191]
	v_add_f64 v[32:33], v[38:39], v[32:33]
	v_fma_f64 v[38:39], v[156:157], s[0:1], -v[194:195]
	;; [unrolled: 5-line block ×3, first 2 shown]
	s_delay_alu instid0(VALU_DEP_1)
	v_add_f64 v[40:41], v[32:33], v[36:37]
	v_mul_f64 v[32:33], v[9:10], s[20:21]
	v_mul_f64 v[9:10], v[9:10], s[22:23]
	scratch_store_b128 off, v[38:41], off offset:36 ; 16-byte Folded Spill
	v_fma_f64 v[36:37], v[164:165], s[8:9], -v[32:33]
	v_mul_f64 v[38:39], v[16:17], s[30:31]
	v_fma_f64 v[32:33], v[164:165], s[8:9], v[32:33]
	v_mul_f64 v[16:17], v[16:17], s[28:29]
	s_delay_alu instid0(VALU_DEP_4) | instskip(NEXT) | instid1(VALU_DEP_4)
	v_add_f64 v[36:37], v[44:45], v[36:37]
	v_fma_f64 v[40:41], v[160:161], s[14:15], -v[38:39]
	s_delay_alu instid0(VALU_DEP_4) | instskip(SKIP_1) | instid1(VALU_DEP_3)
	v_add_f64 v[32:33], v[44:45], v[32:33]
	v_fma_f64 v[38:39], v[160:161], s[14:15], v[38:39]
	v_add_f64 v[36:37], v[40:41], v[36:37]
	v_mul_f64 v[40:41], v[18:19], s[20:21]
	s_delay_alu instid0(VALU_DEP_3) | instskip(SKIP_1) | instid1(VALU_DEP_3)
	v_add_f64 v[32:33], v[38:39], v[32:33]
	v_mul_f64 v[18:19], v[18:19], s[22:23]
	v_fma_f64 v[42:43], v[176:177], s[8:9], v[40:41]
	v_fma_f64 v[38:39], v[176:177], s[8:9], -v[40:41]
	v_fma_f64 v[40:41], v[174:175], s[14:15], -v[80:81]
	s_delay_alu instid0(VALU_DEP_3) | instskip(NEXT) | instid1(VALU_DEP_3)
	v_add_f64 v[42:43], v[46:47], v[42:43]
	v_add_f64 v[38:39], v[46:47], v[38:39]
	s_delay_alu instid0(VALU_DEP_2) | instskip(SKIP_1) | instid1(VALU_DEP_3)
	v_add_f64 v[42:43], v[76:77], v[42:43]
	v_fma_f64 v[76:77], v[166:167], s[0:1], -v[82:83]
	v_add_f64 v[38:39], v[40:41], v[38:39]
	v_fma_f64 v[40:41], v[166:167], s[0:1], v[82:83]
	s_delay_alu instid0(VALU_DEP_3) | instskip(SKIP_1) | instid1(VALU_DEP_3)
	v_add_f64 v[36:37], v[76:77], v[36:37]
	v_fma_f64 v[76:77], v[170:171], s[0:1], v[84:85]
	v_add_f64 v[32:33], v[40:41], v[32:33]
	v_fma_f64 v[40:41], v[170:171], s[0:1], -v[84:85]
	s_delay_alu instid0(VALU_DEP_3) | instskip(SKIP_1) | instid1(VALU_DEP_3)
	v_add_f64 v[42:43], v[76:77], v[42:43]
	v_fma_f64 v[76:77], v[152:153], s[12:13], -v[86:87]
	v_add_f64 v[38:39], v[40:41], v[38:39]
	v_fma_f64 v[40:41], v[152:153], s[12:13], v[86:87]
	s_delay_alu instid0(VALU_DEP_3) | instskip(SKIP_1) | instid1(VALU_DEP_3)
	v_add_f64 v[36:37], v[76:77], v[36:37]
	v_fma_f64 v[76:77], v[156:157], s[12:13], v[88:89]
	v_add_f64 v[32:33], v[40:41], v[32:33]
	v_fma_f64 v[40:41], v[156:157], s[12:13], -v[88:89]
	s_delay_alu instid0(VALU_DEP_3) | instskip(SKIP_1) | instid1(VALU_DEP_3)
	v_add_f64 v[42:43], v[76:77], v[42:43]
	v_fma_f64 v[76:77], v[144:145], s[16:17], -v[90:91]
	v_add_f64 v[38:39], v[40:41], v[38:39]
	v_fma_f64 v[40:41], v[144:145], s[16:17], v[90:91]
	s_delay_alu instid0(VALU_DEP_3) | instskip(SKIP_1) | instid1(VALU_DEP_3)
	v_add_f64 v[64:65], v[76:77], v[36:37]
	v_mul_f64 v[36:37], v[28:29], s[36:37]
	v_add_f64 v[40:41], v[40:41], v[32:33]
	v_fma_f64 v[32:33], v[164:165], s[12:13], -v[9:10]
	v_fma_f64 v[9:10], v[164:165], s[12:13], v[9:10]
	v_mul_f64 v[28:29], v[28:29], s[18:19]
	v_fma_f64 v[78:79], v[146:147], s[16:17], v[36:37]
	v_fma_f64 v[36:37], v[146:147], s[16:17], -v[36:37]
	v_add_f64 v[32:33], v[44:45], v[32:33]
	v_add_f64 v[9:10], v[44:45], v[9:10]
	s_delay_alu instid0(VALU_DEP_4) | instskip(NEXT) | instid1(VALU_DEP_4)
	v_add_f64 v[66:67], v[78:79], v[42:43]
	v_add_f64 v[42:43], v[36:37], v[38:39]
	v_fma_f64 v[36:37], v[160:161], s[0:1], -v[16:17]
	v_fma_f64 v[16:17], v[160:161], s[0:1], v[16:17]
	v_fma_f64 v[38:39], v[174:175], s[0:1], v[20:21]
	s_clause 0x1
	scratch_store_b128 off, v[64:67], off offset:52
	scratch_store_b128 off, v[40:43], off offset:68
	v_add_f64 v[32:33], v[36:37], v[32:33]
	v_add_f64 v[9:10], v[16:17], v[9:10]
	v_fma_f64 v[16:17], v[176:177], s[12:13], -v[18:19]
	v_fma_f64 v[36:37], v[176:177], s[12:13], v[18:19]
	v_fma_f64 v[18:19], v[174:175], s[0:1], -v[20:21]
	v_fma_f64 v[20:21], v[146:147], s[14:15], -v[28:29]
	s_delay_alu instid0(VALU_DEP_4) | instskip(NEXT) | instid1(VALU_DEP_4)
	v_add_f64 v[16:17], v[46:47], v[16:17]
	v_add_f64 v[36:37], v[46:47], v[36:37]
	s_delay_alu instid0(VALU_DEP_2) | instskip(SKIP_1) | instid1(VALU_DEP_3)
	v_add_f64 v[16:17], v[18:19], v[16:17]
	v_fma_f64 v[18:19], v[166:167], s[8:9], v[22:23]
	v_add_f64 v[36:37], v[38:39], v[36:37]
	v_fma_f64 v[38:39], v[166:167], s[8:9], -v[22:23]
	s_delay_alu instid0(VALU_DEP_3) | instskip(SKIP_1) | instid1(VALU_DEP_3)
	v_add_f64 v[9:10], v[18:19], v[9:10]
	v_fma_f64 v[18:19], v[170:171], s[8:9], -v[24:25]
	v_add_f64 v[32:33], v[38:39], v[32:33]
	v_fma_f64 v[38:39], v[170:171], s[8:9], v[24:25]
	s_delay_alu instid0(VALU_DEP_3) | instskip(SKIP_1) | instid1(VALU_DEP_3)
	v_add_f64 v[16:17], v[18:19], v[16:17]
	v_fma_f64 v[18:19], v[152:153], s[16:17], v[26:27]
	v_add_f64 v[36:37], v[38:39], v[36:37]
	v_fma_f64 v[38:39], v[152:153], s[16:17], -v[26:27]
	s_delay_alu instid0(VALU_DEP_3) | instskip(SKIP_1) | instid1(VALU_DEP_3)
	v_add_f64 v[9:10], v[18:19], v[9:10]
	v_fma_f64 v[18:19], v[156:157], s[16:17], -v[30:31]
	v_add_f64 v[32:33], v[38:39], v[32:33]
	v_fma_f64 v[38:39], v[156:157], s[16:17], v[30:31]
	s_delay_alu instid0(VALU_DEP_3) | instskip(SKIP_1) | instid1(VALU_DEP_3)
	v_add_f64 v[16:17], v[18:19], v[16:17]
	v_fma_f64 v[18:19], v[144:145], s[14:15], v[34:35]
	v_add_f64 v[36:37], v[38:39], v[36:37]
	v_fma_f64 v[38:39], v[144:145], s[14:15], -v[34:35]
	s_delay_alu instid0(VALU_DEP_4) | instskip(NEXT) | instid1(VALU_DEP_4)
	v_add_f64 v[20:21], v[20:21], v[16:17]
	v_add_f64 v[18:19], v[18:19], v[9:10]
	scratch_load_b32 v10, off, off          ; 4-byte Folded Reload
	v_add_f64 v[88:89], v[38:39], v[32:33]
	v_fma_f64 v[32:33], v[146:147], s[14:15], v[28:29]
	scratch_store_b128 off, v[18:21], off offset:84 ; 16-byte Folded Spill
	s_waitcnt vmcnt(0)
	s_waitcnt_vscnt null, 0x0
	s_barrier
	v_add_f64 v[90:91], v[32:33], v[36:37]
	buffer_gl0_inv
	v_mul_lo_u16 v9, v10, 11
	s_delay_alu instid0(VALU_DEP_1) | instskip(NEXT) | instid1(VALU_DEP_1)
	v_and_b32_e32 v9, 0xffff, v9
	v_lshlrev_b32_e32 v11, 4, v9
	ds_store_b128 v11, v[116:119]
	ds_store_b128 v11, v[124:127] offset:16
	ds_store_b128 v11, v[128:131] offset:32
	;; [unrolled: 1-line block ×10, first 2 shown]
	v_add_co_u32 v14, s18, v10, 55
	s_delay_alu instid0(VALU_DEP_1) | instskip(NEXT) | instid1(VALU_DEP_2)
	v_add_co_ci_u32_e64 v9, null, 0, 0, s18
	v_mul_u32_u24_e32 v9, 11, v14
	scratch_store_b32 off, v9, off offset:316 ; 4-byte Folded Spill
	s_and_saveexec_b32 s18, vcc_lo
	s_cbranch_execz .LBB0_7
; %bb.6:
	v_add_f64 v[9:10], v[46:47], v[50:51]
	v_add_f64 v[12:13], v[44:45], v[48:49]
	v_mul_f64 v[15:16], v[176:177], s[14:15]
	v_mul_f64 v[17:18], v[164:165], s[14:15]
	;; [unrolled: 1-line block ×16, first 2 shown]
	v_add_f64 v[9:10], v[9:10], v[94:95]
	v_add_f64 v[12:13], v[12:13], v[92:93]
	;; [unrolled: 1-line block ×3, first 2 shown]
	v_add_f64 v[17:18], v[17:18], -v[206:207]
	v_add_f64 v[19:20], v[196:197], v[19:20]
	v_add_f64 v[21:22], v[21:22], -v[192:193]
	v_add_f64 v[23:24], v[162:163], v[23:24]
	v_add_f64 v[25:26], v[25:26], -v[148:149]
	v_mul_f64 v[92:93], v[166:167], s[16:17]
	v_mul_f64 v[94:95], v[170:171], s[16:17]
	v_add_f64 v[27:28], v[204:205], v[27:28]
	v_add_f64 v[29:30], v[29:30], -v[202:203]
	v_add_f64 v[31:32], v[188:189], v[31:32]
	v_add_f64 v[33:34], v[33:34], -v[184:185]
	;; [unrolled: 2-line block ×3, first 2 shown]
	v_add_f64 v[50:51], v[180:181], v[50:51]
	v_add_f64 v[41:42], v[142:143], v[41:42]
	v_add_f64 v[39:40], v[39:40], -v[138:139]
	v_add_f64 v[9:10], v[9:10], v[106:107]
	v_add_f64 v[12:13], v[12:13], v[104:105]
	v_add_f64 v[15:16], v[46:47], v[15:16]
	v_add_f64 v[17:18], v[44:45], v[17:18]
	v_add_f64 v[19:20], v[46:47], v[19:20]
	v_add_f64 v[21:22], v[44:45], v[21:22]
	v_add_f64 v[23:24], v[46:47], v[23:24]
	v_add_f64 v[25:26], v[44:45], v[25:26]
	v_mul_f64 v[104:105], v[152:153], s[0:1]
	v_mul_f64 v[106:107], v[156:157], s[0:1]
	v_add_f64 v[94:95], v[200:201], v[94:95]
	v_add_f64 v[92:93], v[92:93], -v[198:199]
	v_mul_f64 v[43:44], v[152:153], s[8:9]
	v_mul_f64 v[45:46], v[156:157], s[8:9]
	v_add_f64 v[47:48], v[48:49], -v[178:179]
	v_add_f64 v[9:10], v[9:10], v[114:115]
	v_add_f64 v[12:13], v[12:13], v[112:113]
	;; [unrolled: 1-line block ×8, first 2 shown]
	v_mul_f64 v[27:28], v[144:145], s[12:13]
	v_mul_f64 v[33:34], v[146:147], s[0:1]
	;; [unrolled: 1-line block ×4, first 2 shown]
	v_add_f64 v[4:5], v[43:44], -v[4:5]
	v_add_f64 v[45:46], v[136:137], v[45:46]
	v_mul_f64 v[29:30], v[146:147], s[12:13]
	v_mul_f64 v[31:32], v[144:145], s[0:1]
	v_add_f64 v[9:10], v[9:10], v[110:111]
	v_add_f64 v[12:13], v[12:13], v[108:109]
	;; [unrolled: 1-line block ×8, first 2 shown]
	v_add_f64 v[27:28], v[27:28], -v[2:3]
	v_add_f64 v[33:34], v[158:159], v[33:34]
	v_add_f64 v[35:36], v[35:36], -v[182:183]
	v_add_f64 v[37:38], v[186:187], v[37:38]
	v_add_f64 v[6:7], v[6:7], v[29:30]
	v_add_f64 v[31:32], v[31:32], -v[154:155]
	v_add_f64 v[9:10], v[9:10], v[102:103]
	v_add_f64 v[12:13], v[12:13], v[100:101]
	v_mul_f64 v[102:103], v[156:157], s[14:15]
	v_mul_f64 v[100:101], v[152:153], s[14:15]
	s_delay_alu instid0(VALU_DEP_4) | instskip(NEXT) | instid1(VALU_DEP_4)
	v_add_f64 v[9:10], v[9:10], v[98:99]
	v_add_f64 v[12:13], v[12:13], v[96:97]
	;; [unrolled: 1-line block ×3, first 2 shown]
	v_add_f64 v[98:99], v[104:105], -v[190:191]
	v_add_f64 v[102:103], v[172:173], v[102:103]
	v_add_f64 v[100:101], v[100:101], -v[168:169]
	v_add_f64 v[9:10], v[9:10], v[58:59]
	v_add_f64 v[12:13], v[12:13], v[56:57]
	;; [unrolled: 1-line block ×13, first 2 shown]
	scratch_load_b128 v[15:18], off, off offset:52 ; 16-byte Folded Reload
	v_add_f64 v[50:51], v[6:7], v[21:22]
	v_mul_u32_u24_e32 v6, 11, v14
	v_add_f64 v[44:45], v[31:32], v[19:20]
	v_add_f64 v[48:49], v[27:28], v[23:24]
	s_delay_alu instid0(VALU_DEP_3)
	v_lshlrev_b32_e32 v6, 4, v6
	s_waitcnt vmcnt(0)
	ds_store_b128 v6, v[15:18] offset:64
	ds_store_b128 v6, v[88:91] offset:80
	scratch_load_b128 v[15:18], off, off offset:84 ; 16-byte Folded Reload
	v_add_f64 v[54:55], v[9:10], v[62:63]
	v_add_f64 v[52:53], v[12:13], v[60:61]
	s_waitcnt vmcnt(0)
	ds_store_b128 v6, v[15:18] offset:96
	scratch_load_b128 v[15:18], off, off offset:68 ; 16-byte Folded Reload
	s_waitcnt vmcnt(0)
	ds_store_b128 v6, v[15:18] offset:112
	scratch_load_b128 v[15:18], off, off offset:36 ; 16-byte Folded Reload
	s_waitcnt vmcnt(0)
	ds_store_b128 v6, v[15:18] offset:128
	scratch_load_b128 v[15:18], off, off offset:20 ; 16-byte Folded Reload
	s_waitcnt vmcnt(0)
	ds_store_b128 v6, v[15:18] offset:144
	ds_store_b128 v6, v[44:47] offset:32
	;; [unrolled: 1-line block ×3, first 2 shown]
	ds_store_b128 v6, v[52:55]
	ds_store_b128 v6, v[48:51] offset:16
	scratch_load_b128 v[2:5], off, off offset:4 ; 16-byte Folded Reload
	s_waitcnt vmcnt(0)
	ds_store_b128 v6, v[2:5] offset:160
.LBB0_7:
	s_or_b32 exec_lo, exec_lo, s18
	scratch_load_b32 v67, off, off          ; 4-byte Folded Reload
	s_waitcnt vmcnt(0) lgkmcnt(0)
	s_waitcnt_vscnt null, 0x0
	s_barrier
	buffer_gl0_inv
	s_mov_b32 s12, 0x134454ff
	s_mov_b32 s13, 0x3fee6f0e
	s_mov_b32 s15, 0xbfee6f0e
	s_mov_b32 s14, s12
	s_mov_b32 s0, 0x4755a5e
	s_mov_b32 s1, 0x3fe2cf23
	s_mov_b32 s9, 0xbfe2cf23
	s_mov_b32 s8, s0
	s_mov_b32 s16, 0x372fe950
	s_mov_b32 s17, 0x3fd3c6ef
	v_and_b32_e32 v2, 0xff, v67
	s_delay_alu instid0(VALU_DEP_1) | instskip(NEXT) | instid1(VALU_DEP_1)
	v_mul_lo_u16 v2, 0x75, v2
	v_lshrrev_b16 v2, 8, v2
	s_delay_alu instid0(VALU_DEP_1) | instskip(NEXT) | instid1(VALU_DEP_1)
	v_sub_nc_u16 v3, v67, v2
	v_lshrrev_b16 v3, 1, v3
	s_delay_alu instid0(VALU_DEP_1) | instskip(NEXT) | instid1(VALU_DEP_1)
	v_and_b32_e32 v3, 0x7f, v3
	v_add_nc_u16 v2, v3, v2
	s_delay_alu instid0(VALU_DEP_1) | instskip(NEXT) | instid1(VALU_DEP_1)
	v_lshrrev_b16 v4, 3, v2
	v_mul_lo_u16 v2, v4, 11
	v_and_b32_e32 v4, 0xffff, v4
	s_delay_alu instid0(VALU_DEP_2) | instskip(NEXT) | instid1(VALU_DEP_2)
	v_sub_nc_u16 v2, v67, v2
	v_mul_u32_u24_e32 v4, 55, v4
	s_delay_alu instid0(VALU_DEP_2) | instskip(NEXT) | instid1(VALU_DEP_1)
	v_and_b32_e32 v5, 0xff, v2
	v_lshlrev_b32_e32 v2, 6, v5
	s_delay_alu instid0(VALU_DEP_3)
	v_add_lshl_u32 v4, v4, v5, 4
	s_clause 0x3
	global_load_b128 v[52:55], v2, s[2:3]
	global_load_b128 v[48:51], v2, s[2:3] offset:16
	global_load_b128 v[44:47], v2, s[2:3] offset:48
	;; [unrolled: 1-line block ×3, first 2 shown]
	ds_load_b128 v[60:63], v8 offset:2640
	ds_load_b128 v[92:95], v8 offset:1760
	;; [unrolled: 1-line block ×4, first 2 shown]
	s_waitcnt vmcnt(3) lgkmcnt(3)
	v_mul_f64 v[2:3], v[62:63], v[54:55]
	v_mul_f64 v[6:7], v[60:61], v[54:55]
	s_waitcnt vmcnt(2) lgkmcnt(1)
	v_mul_f64 v[12:13], v[96:97], v[50:51]
	s_delay_alu instid0(VALU_DEP_3) | instskip(SKIP_1) | instid1(VALU_DEP_4)
	v_fma_f64 v[9:10], v[60:61], v[52:53], -v[2:3]
	v_mul_f64 v[2:3], v[98:99], v[50:51]
	v_fma_f64 v[6:7], v[62:63], v[52:53], v[6:7]
	s_delay_alu instid0(VALU_DEP_4) | instskip(NEXT) | instid1(VALU_DEP_3)
	v_fma_f64 v[12:13], v[98:99], v[48:49], v[12:13]
	v_fma_f64 v[15:16], v[96:97], v[48:49], -v[2:3]
	ds_load_b128 v[60:63], v8 offset:10560
	ds_load_b128 v[96:99], v8 offset:11440
	s_waitcnt vmcnt(1) lgkmcnt(1)
	v_mul_f64 v[2:3], v[62:63], v[46:47]
	s_delay_alu instid0(VALU_DEP_1) | instskip(SKIP_1) | instid1(VALU_DEP_2)
	v_fma_f64 v[17:18], v[60:61], v[44:45], -v[2:3]
	v_mul_f64 v[2:3], v[60:61], v[46:47]
	v_add_f64 v[148:149], v[9:10], -v[17:18]
	s_delay_alu instid0(VALU_DEP_2)
	v_fma_f64 v[19:20], v[62:63], v[44:45], v[2:3]
	ds_load_b128 v[60:63], v8 offset:7920
	ds_load_b128 v[124:127], v8 offset:7040
	s_waitcnt vmcnt(0) lgkmcnt(1)
	v_mul_f64 v[2:3], v[62:63], v[58:59]
	v_add_f64 v[144:145], v[6:7], -v[19:20]
	s_delay_alu instid0(VALU_DEP_2) | instskip(SKIP_1) | instid1(VALU_DEP_2)
	v_fma_f64 v[21:22], v[60:61], v[56:57], -v[2:3]
	v_mul_f64 v[2:3], v[60:61], v[58:59]
	v_add_f64 v[150:151], v[15:16], -v[21:22]
	s_delay_alu instid0(VALU_DEP_2) | instskip(SKIP_1) | instid1(VALU_DEP_1)
	v_fma_f64 v[23:24], v[62:63], v[56:57], v[2:3]
	v_and_b32_e32 v2, 0xff, v14
	v_mul_lo_u16 v2, 0x75, v2
	s_delay_alu instid0(VALU_DEP_1) | instskip(NEXT) | instid1(VALU_DEP_1)
	v_lshrrev_b16 v2, 8, v2
	v_sub_nc_u16 v3, v14, v2
	s_delay_alu instid0(VALU_DEP_1) | instskip(NEXT) | instid1(VALU_DEP_1)
	v_lshrrev_b16 v3, 1, v3
	v_and_b32_e32 v3, 0x7f, v3
	s_delay_alu instid0(VALU_DEP_1) | instskip(NEXT) | instid1(VALU_DEP_1)
	v_add_nc_u16 v2, v3, v2
	v_lshrrev_b16 v43, 3, v2
	v_add_f64 v[146:147], v[12:13], -v[23:24]
	s_delay_alu instid0(VALU_DEP_2) | instskip(NEXT) | instid1(VALU_DEP_1)
	v_mul_lo_u16 v2, v43, 11
	v_sub_nc_u16 v2, v14, v2
	s_delay_alu instid0(VALU_DEP_1) | instskip(NEXT) | instid1(VALU_DEP_1)
	v_and_b32_e32 v64, 0xff, v2
	v_lshlrev_b32_e32 v33, 6, v64
	s_clause 0x1
	global_load_b128 v[112:115], v33, s[2:3]
	global_load_b128 v[104:107], v33, s[2:3] offset:16
	ds_load_b128 v[60:63], v8 offset:3520
	ds_load_b128 v[132:135], v8 offset:4400
	s_clause 0x1
	global_load_b128 v[116:119], v33, s[2:3] offset:32
	global_load_b128 v[108:111], v33, s[2:3] offset:48
	s_waitcnt vmcnt(3) lgkmcnt(1)
	v_mul_f64 v[2:3], v[62:63], v[114:115]
	s_delay_alu instid0(VALU_DEP_1) | instskip(SKIP_1) | instid1(VALU_DEP_1)
	v_fma_f64 v[25:26], v[60:61], v[112:113], -v[2:3]
	v_mul_f64 v[2:3], v[60:61], v[114:115]
	v_fma_f64 v[27:28], v[62:63], v[112:113], v[2:3]
	s_waitcnt vmcnt(2)
	v_mul_f64 v[2:3], v[102:103], v[106:107]
	s_delay_alu instid0(VALU_DEP_1) | instskip(SKIP_1) | instid1(VALU_DEP_1)
	v_fma_f64 v[29:30], v[100:101], v[104:105], -v[2:3]
	v_mul_f64 v[2:3], v[100:101], v[106:107]
	v_fma_f64 v[31:32], v[102:103], v[104:105], v[2:3]
	ds_load_b128 v[60:63], v8 offset:8800
	ds_load_b128 v[100:103], v8 offset:9680
	s_waitcnt vmcnt(1) lgkmcnt(1)
	v_mul_f64 v[2:3], v[62:63], v[118:119]
	s_delay_alu instid0(VALU_DEP_1) | instskip(SKIP_1) | instid1(VALU_DEP_2)
	v_fma_f64 v[33:34], v[60:61], v[116:117], -v[2:3]
	v_mul_f64 v[2:3], v[60:61], v[118:119]
	v_add_f64 v[156:157], v[29:30], -v[33:34]
	s_delay_alu instid0(VALU_DEP_2) | instskip(SKIP_2) | instid1(VALU_DEP_1)
	v_fma_f64 v[35:36], v[62:63], v[116:117], v[2:3]
	s_waitcnt vmcnt(0)
	v_mul_f64 v[2:3], v[98:99], v[110:111]
	v_fma_f64 v[37:38], v[96:97], v[108:109], -v[2:3]
	v_mul_f64 v[2:3], v[96:97], v[110:111]
	s_delay_alu instid0(VALU_DEP_1) | instskip(SKIP_1) | instid1(VALU_DEP_1)
	v_fma_f64 v[39:40], v[98:99], v[108:109], v[2:3]
	v_add_co_u32 v2, null, 0x6e, v67
	v_and_b32_e32 v3, 0xff, v2
	s_delay_alu instid0(VALU_DEP_1) | instskip(SKIP_1) | instid1(VALU_DEP_2)
	v_mul_lo_u16 v41, 0x75, v3
	v_mul_lo_u16 v3, 0x95, v3
	v_lshrrev_b16 v41, 8, v41
	s_delay_alu instid0(VALU_DEP_2) | instskip(NEXT) | instid1(VALU_DEP_2)
	v_lshrrev_b16 v3, 13, v3
	v_sub_nc_u16 v42, v2, v41
	s_delay_alu instid0(VALU_DEP_2) | instskip(NEXT) | instid1(VALU_DEP_2)
	v_mul_lo_u16 v3, v3, 55
	v_lshrrev_b16 v42, 1, v42
	s_delay_alu instid0(VALU_DEP_2) | instskip(NEXT) | instid1(VALU_DEP_2)
	v_sub_nc_u16 v3, v2, v3
	v_and_b32_e32 v42, 0x7f, v42
	s_delay_alu instid0(VALU_DEP_2) | instskip(NEXT) | instid1(VALU_DEP_2)
	v_and_b32_e32 v3, 0xff, v3
	v_add_nc_u16 v41, v42, v41
	s_delay_alu instid0(VALU_DEP_1) | instskip(NEXT) | instid1(VALU_DEP_1)
	v_lshrrev_b16 v65, 3, v41
	v_mul_lo_u16 v41, v65, 11
	s_delay_alu instid0(VALU_DEP_1) | instskip(SKIP_1) | instid1(VALU_DEP_2)
	v_sub_nc_u16 v41, v2, v41
	v_lshlrev_b32_e32 v2, 5, v2
	v_and_b32_e32 v66, 0xff, v41
	s_delay_alu instid0(VALU_DEP_1)
	v_lshlrev_b32_e32 v62, 6, v66
	s_clause 0x1
	global_load_b128 v[128:131], v62, s[2:3]
	global_load_b128 v[120:123], v62, s[2:3] offset:16
	s_waitcnt vmcnt(1)
	v_mul_f64 v[60:61], v[132:133], v[130:131]
	v_mul_f64 v[41:42], v[134:135], v[130:131]
	s_delay_alu instid0(VALU_DEP_2) | instskip(SKIP_2) | instid1(VALU_DEP_3)
	v_fma_f64 v[172:173], v[134:135], v[128:129], v[60:61]
	s_waitcnt vmcnt(0)
	v_mul_f64 v[60:61], v[126:127], v[122:123]
	v_fma_f64 v[41:42], v[132:133], v[128:129], -v[41:42]
	s_delay_alu instid0(VALU_DEP_2) | instskip(SKIP_1) | instid1(VALU_DEP_1)
	v_fma_f64 v[174:175], v[124:125], v[120:121], -v[60:61]
	v_mul_f64 v[60:61], v[124:125], v[122:123]
	v_fma_f64 v[176:177], v[126:127], v[120:121], v[60:61]
	s_clause 0x1
	global_load_b128 v[132:135], v62, s[2:3] offset:32
	global_load_b128 v[124:127], v62, s[2:3] offset:48
	s_waitcnt vmcnt(1) lgkmcnt(0)
	v_mul_f64 v[60:61], v[102:103], v[134:135]
	s_delay_alu instid0(VALU_DEP_1) | instskip(SKIP_2) | instid1(VALU_DEP_2)
	v_fma_f64 v[178:179], v[100:101], v[132:133], -v[60:61]
	v_mul_f64 v[60:61], v[100:101], v[134:135]
	v_add_f64 v[100:101], v[15:16], v[21:22]
	v_fma_f64 v[180:181], v[102:103], v[132:133], v[60:61]
	ds_load_b128 v[60:63], v8 offset:12320
	s_waitcnt vmcnt(0) lgkmcnt(0)
	v_mul_f64 v[96:97], v[62:63], v[126:127]
	s_delay_alu instid0(VALU_DEP_1) | instskip(SKIP_1) | instid1(VALU_DEP_1)
	v_fma_f64 v[182:183], v[60:61], v[124:125], -v[96:97]
	v_mul_f64 v[60:61], v[60:61], v[126:127]
	v_fma_f64 v[184:185], v[62:63], v[124:125], v[60:61]
	v_add_f64 v[60:61], v[9:10], -v[15:16]
	v_add_f64 v[62:63], v[17:18], -v[21:22]
	s_delay_alu instid0(VALU_DEP_1) | instskip(SKIP_2) | instid1(VALU_DEP_1)
	v_add_f64 v[136:137], v[60:61], v[62:63]
	v_add_f64 v[60:61], v[6:7], -v[12:13]
	v_add_f64 v[62:63], v[19:20], -v[23:24]
	v_add_f64 v[138:139], v[60:61], v[62:63]
	ds_load_b128 v[60:63], v8
	ds_load_b128 v[96:99], v8 offset:880
	s_waitcnt lgkmcnt(0)
	s_barrier
	buffer_gl0_inv
	v_fma_f64 v[140:141], v[100:101], -0.5, v[60:61]
	v_add_f64 v[100:101], v[12:13], v[23:24]
	s_delay_alu instid0(VALU_DEP_1) | instskip(NEXT) | instid1(VALU_DEP_3)
	v_fma_f64 v[142:143], v[100:101], -0.5, v[62:63]
	v_fma_f64 v[100:101], v[144:145], s[12:13], v[140:141]
	v_fma_f64 v[140:141], v[144:145], s[14:15], v[140:141]
	s_delay_alu instid0(VALU_DEP_3) | instskip(SKIP_1) | instid1(VALU_DEP_4)
	v_fma_f64 v[102:103], v[148:149], s[14:15], v[142:143]
	v_fma_f64 v[142:143], v[148:149], s[12:13], v[142:143]
	;; [unrolled: 1-line block ×3, first 2 shown]
	s_delay_alu instid0(VALU_DEP_4) | instskip(NEXT) | instid1(VALU_DEP_4)
	v_fma_f64 v[140:141], v[146:147], s[8:9], v[140:141]
	v_fma_f64 v[102:103], v[150:151], s[8:9], v[102:103]
	s_delay_alu instid0(VALU_DEP_4) | instskip(NEXT) | instid1(VALU_DEP_4)
	v_fma_f64 v[142:143], v[150:151], s[0:1], v[142:143]
	v_fma_f64 v[100:101], v[136:137], s[16:17], v[100:101]
	s_delay_alu instid0(VALU_DEP_4) | instskip(SKIP_4) | instid1(VALU_DEP_4)
	v_fma_f64 v[136:137], v[136:137], s[16:17], v[140:141]
	v_add_f64 v[140:141], v[9:10], v[17:18]
	v_fma_f64 v[102:103], v[138:139], s[16:17], v[102:103]
	v_fma_f64 v[138:139], v[138:139], s[16:17], v[142:143]
	v_add_f64 v[142:143], v[6:7], v[19:20]
	v_fma_f64 v[140:141], v[140:141], -0.5, v[60:61]
	v_add_f64 v[60:61], v[60:61], v[9:10]
	v_add_f64 v[9:10], v[15:16], -v[9:10]
	s_delay_alu instid0(VALU_DEP_4) | instskip(SKIP_3) | instid1(VALU_DEP_3)
	v_fma_f64 v[142:143], v[142:143], -0.5, v[62:63]
	v_add_f64 v[62:63], v[62:63], v[6:7]
	v_add_f64 v[6:7], v[12:13], -v[6:7]
	v_add_f64 v[15:16], v[60:61], v[15:16]
	v_add_f64 v[60:61], v[62:63], v[12:13]
	s_delay_alu instid0(VALU_DEP_2) | instskip(SKIP_1) | instid1(VALU_DEP_3)
	v_add_f64 v[12:13], v[15:16], v[21:22]
	v_add_f64 v[21:22], v[21:22], -v[17:18]
	v_add_f64 v[15:16], v[60:61], v[23:24]
	s_delay_alu instid0(VALU_DEP_3)
	v_add_f64 v[60:61], v[12:13], v[17:18]
	v_add_f64 v[12:13], v[23:24], -v[19:20]
	v_fma_f64 v[17:18], v[146:147], s[12:13], v[140:141]
	v_fma_f64 v[23:24], v[150:151], s[14:15], v[142:143]
	v_add_f64 v[9:10], v[9:10], v[21:22]
	v_add_f64 v[62:63], v[15:16], v[19:20]
	v_fma_f64 v[15:16], v[146:147], s[14:15], v[140:141]
	v_fma_f64 v[19:20], v[150:151], s[12:13], v[142:143]
	v_add_f64 v[6:7], v[6:7], v[12:13]
	s_delay_alu instid0(VALU_DEP_3) | instskip(SKIP_1) | instid1(VALU_DEP_4)
	v_fma_f64 v[12:13], v[144:145], s[0:1], v[15:16]
	v_fma_f64 v[15:16], v[144:145], s[8:9], v[17:18]
	;; [unrolled: 1-line block ×4, first 2 shown]
	v_add_f64 v[23:24], v[25:26], -v[37:38]
	v_fma_f64 v[140:141], v[9:10], s[16:17], v[12:13]
	v_fma_f64 v[144:145], v[9:10], s[16:17], v[15:16]
	v_fma_f64 v[142:143], v[6:7], s[16:17], v[17:18]
	v_fma_f64 v[146:147], v[6:7], s[16:17], v[19:20]
	v_add_f64 v[6:7], v[25:26], -v[29:30]
	v_add_f64 v[9:10], v[37:38], -v[33:34]
	;; [unrolled: 1-line block ×3, first 2 shown]
	v_add_f64 v[15:16], v[31:32], v[35:36]
	v_add_f64 v[17:18], v[27:28], -v[39:40]
	v_add_f64 v[19:20], v[31:32], -v[35:36]
	ds_store_b128 v4, v[60:63]
	ds_store_b128 v4, v[100:103] offset:176
	ds_store_b128 v4, v[140:143] offset:352
	;; [unrolled: 1-line block ×3, first 2 shown]
	scratch_store_b32 off, v4, off offset:308 ; 4-byte Folded Spill
	ds_store_b128 v4, v[136:139] offset:704
	v_and_b32_e32 v4, 0xffff, v43
	v_add_f64 v[6:7], v[6:7], v[9:10]
	v_add_f64 v[9:10], v[27:28], -v[31:32]
	v_fma_f64 v[15:16], v[15:16], -0.5, v[98:99]
	s_delay_alu instid0(VALU_DEP_4) | instskip(NEXT) | instid1(VALU_DEP_1)
	v_mul_u32_u24_e32 v4, 55, v4
	v_add_lshl_u32 v4, v4, v64, 4
	s_delay_alu instid0(VALU_DEP_4) | instskip(SKIP_3) | instid1(VALU_DEP_3)
	v_add_f64 v[9:10], v[9:10], v[12:13]
	v_add_f64 v[12:13], v[29:30], v[33:34]
	v_fma_f64 v[148:149], v[23:24], s[14:15], v[15:16]
	v_fma_f64 v[15:16], v[23:24], s[12:13], v[15:16]
	v_fma_f64 v[12:13], v[12:13], -0.5, v[96:97]
	s_delay_alu instid0(VALU_DEP_3) | instskip(NEXT) | instid1(VALU_DEP_3)
	v_fma_f64 v[150:151], v[156:157], s[8:9], v[148:149]
	v_fma_f64 v[15:16], v[156:157], s[0:1], v[15:16]
	s_delay_alu instid0(VALU_DEP_3) | instskip(SKIP_1) | instid1(VALU_DEP_3)
	v_fma_f64 v[21:22], v[17:18], s[12:13], v[12:13]
	v_fma_f64 v[12:13], v[17:18], s[14:15], v[12:13]
	;; [unrolled: 1-line block ×3, first 2 shown]
	v_add_f64 v[15:16], v[98:99], v[27:28]
	v_fma_f64 v[150:151], v[9:10], s[16:17], v[150:151]
	v_add_f64 v[9:10], v[27:28], v[39:40]
	v_fma_f64 v[21:22], v[19:20], s[0:1], v[21:22]
	v_fma_f64 v[12:13], v[19:20], s[8:9], v[12:13]
	v_add_f64 v[15:16], v[15:16], v[31:32]
	s_delay_alu instid0(VALU_DEP_4) | instskip(NEXT) | instid1(VALU_DEP_4)
	v_fma_f64 v[9:10], v[9:10], -0.5, v[98:99]
	v_fma_f64 v[148:149], v[6:7], s[16:17], v[21:22]
	s_delay_alu instid0(VALU_DEP_4)
	v_fma_f64 v[152:153], v[6:7], s[16:17], v[12:13]
	v_add_f64 v[12:13], v[96:97], v[25:26]
	v_add_f64 v[6:7], v[25:26], v[37:38]
	v_add_f64 v[15:16], v[15:16], v[35:36]
	v_add_f64 v[21:22], v[29:30], -v[25:26]
	v_add_f64 v[25:26], v[31:32], -v[27:28]
	;; [unrolled: 1-line block ×3, first 2 shown]
	v_add_f64 v[12:13], v[12:13], v[29:30]
	v_fma_f64 v[6:7], v[6:7], -0.5, v[96:97]
	v_add_f64 v[98:99], v[15:16], v[39:40]
	v_add_f64 v[29:30], v[182:183], -v[178:179]
	v_add_f64 v[21:22], v[21:22], v[27:28]
	v_add_f64 v[12:13], v[12:13], v[33:34]
	v_fma_f64 v[15:16], v[19:20], s[14:15], v[6:7]
	v_fma_f64 v[6:7], v[19:20], s[12:13], v[6:7]
	;; [unrolled: 1-line block ×4, first 2 shown]
	v_add_f64 v[96:97], v[12:13], v[37:38]
	v_add_f64 v[12:13], v[35:36], -v[39:40]
	v_fma_f64 v[6:7], v[17:18], s[8:9], v[6:7]
	v_fma_f64 v[15:16], v[17:18], s[0:1], v[15:16]
	;; [unrolled: 1-line block ×4, first 2 shown]
	v_add_f64 v[23:24], v[174:175], -v[178:179]
	v_add_f64 v[19:20], v[172:173], -v[184:185]
	v_add_f64 v[12:13], v[25:26], v[12:13]
	v_fma_f64 v[160:161], v[21:22], s[16:17], v[6:7]
	v_add_f64 v[6:7], v[174:175], -v[41:42]
	v_fma_f64 v[156:157], v[21:22], s[16:17], v[15:16]
	v_add_f64 v[15:16], v[172:173], v[184:185]
	v_add_f64 v[25:26], v[41:42], -v[182:183]
	v_fma_f64 v[162:163], v[12:13], s[16:17], v[9:10]
	v_add_f64 v[9:10], v[178:179], -v[182:183]
	v_fma_f64 v[158:159], v[12:13], s[16:17], v[17:18]
	v_add_f64 v[12:13], v[180:181], -v[184:185]
	v_fma_f64 v[15:16], v[15:16], -0.5, v[94:95]
	v_add_f64 v[17:18], v[176:177], -v[180:181]
	ds_store_b128 v4, v[96:99]
	ds_store_b128 v4, v[148:151] offset:176
	ds_store_b128 v4, v[156:159] offset:352
	;; [unrolled: 1-line block ×3, first 2 shown]
	v_add_f64 v[6:7], v[6:7], v[9:10]
	v_add_f64 v[9:10], v[176:177], -v[172:173]
	scratch_store_b32 off, v4, off offset:304 ; 4-byte Folded Spill
	v_fma_f64 v[27:28], v[23:24], s[12:13], v[15:16]
	v_fma_f64 v[15:16], v[23:24], s[14:15], v[15:16]
	ds_store_b128 v4, v[152:155] offset:704
	v_and_b32_e32 v4, 0xffff, v65
	s_delay_alu instid0(VALU_DEP_1) | instskip(NEXT) | instid1(VALU_DEP_1)
	v_mul_u32_u24_e32 v4, 55, v4
	v_add_lshl_u32 v4, v4, v66, 4
	v_add_f64 v[9:10], v[9:10], v[12:13]
	v_add_f64 v[12:13], v[41:42], v[182:183]
	v_fma_f64 v[27:28], v[25:26], s[8:9], v[27:28]
	v_fma_f64 v[15:16], v[25:26], s[0:1], v[15:16]
	s_delay_alu instid0(VALU_DEP_3) | instskip(NEXT) | instid1(VALU_DEP_3)
	v_fma_f64 v[12:13], v[12:13], -0.5, v[92:93]
	v_fma_f64 v[166:167], v[9:10], s[16:17], v[27:28]
	s_delay_alu instid0(VALU_DEP_3)
	v_fma_f64 v[170:171], v[9:10], s[16:17], v[15:16]
	v_add_f64 v[15:16], v[94:95], v[172:173]
	v_add_f64 v[9:10], v[176:177], v[180:181]
	v_add_f64 v[27:28], v[172:173], -v[176:177]
	v_fma_f64 v[21:22], v[17:18], s[14:15], v[12:13]
	v_fma_f64 v[12:13], v[17:18], s[12:13], v[12:13]
	v_add_f64 v[15:16], v[15:16], v[176:177]
	v_fma_f64 v[9:10], v[9:10], -0.5, v[94:95]
	s_delay_alu instid0(VALU_DEP_4) | instskip(NEXT) | instid1(VALU_DEP_4)
	v_fma_f64 v[21:22], v[19:20], s[0:1], v[21:22]
	v_fma_f64 v[12:13], v[19:20], s[8:9], v[12:13]
	s_delay_alu instid0(VALU_DEP_4) | instskip(NEXT) | instid1(VALU_DEP_3)
	v_add_f64 v[15:16], v[15:16], v[180:181]
	v_fma_f64 v[164:165], v[6:7], s[16:17], v[21:22]
	s_delay_alu instid0(VALU_DEP_3) | instskip(SKIP_4) | instid1(VALU_DEP_4)
	v_fma_f64 v[168:169], v[6:7], s[16:17], v[12:13]
	v_add_f64 v[12:13], v[92:93], v[41:42]
	v_add_f64 v[6:7], v[174:175], v[178:179]
	v_add_f64 v[21:22], v[41:42], -v[174:175]
	v_add_f64 v[94:95], v[15:16], v[184:185]
	v_add_f64 v[12:13], v[12:13], v[174:175]
	s_delay_alu instid0(VALU_DEP_4) | instskip(NEXT) | instid1(VALU_DEP_4)
	v_fma_f64 v[6:7], v[6:7], -0.5, v[92:93]
	v_add_f64 v[21:22], v[21:22], v[29:30]
	s_delay_alu instid0(VALU_DEP_3) | instskip(NEXT) | instid1(VALU_DEP_3)
	v_add_f64 v[12:13], v[12:13], v[178:179]
	v_fma_f64 v[15:16], v[19:20], s[12:13], v[6:7]
	v_fma_f64 v[6:7], v[19:20], s[14:15], v[6:7]
	;; [unrolled: 1-line block ×4, first 2 shown]
	v_add_f64 v[92:93], v[12:13], v[182:183]
	v_add_f64 v[12:13], v[184:185], -v[180:181]
	v_fma_f64 v[6:7], v[17:18], s[8:9], v[6:7]
	v_fma_f64 v[15:16], v[17:18], s[0:1], v[15:16]
	;; [unrolled: 1-line block ×4, first 2 shown]
	v_add_f64 v[12:13], v[27:28], v[12:13]
	v_fma_f64 v[176:177], v[21:22], s[16:17], v[6:7]
	v_fma_f64 v[172:173], v[21:22], s[16:17], v[15:16]
	v_lshlrev_b32_e32 v7, 6, v3
	v_lshlrev_b32_e32 v3, 4, v3
	v_fma_f64 v[178:179], v[12:13], s[16:17], v[9:10]
	v_fma_f64 v[174:175], v[12:13], s[16:17], v[17:18]
	ds_store_b128 v4, v[92:95]
	ds_store_b128 v4, v[172:175] offset:176
	ds_store_b128 v4, v[164:167] offset:352
	;; [unrolled: 1-line block ×3, first 2 shown]
	scratch_store_b32 off, v4, off offset:300 ; 4-byte Folded Spill
	ds_store_b128 v4, v[176:179] offset:704
	v_lshlrev_b32_e32 v4, 6, v67
	s_waitcnt lgkmcnt(0)
	s_waitcnt_vscnt null, 0x0
	s_barrier
	buffer_gl0_inv
	s_clause 0x1
	global_load_b128 v[60:63], v4, s[2:3] offset:704
	global_load_b128 v[100:103], v4, s[2:3] offset:720
	ds_load_b128 v[92:95], v8 offset:2640
	ds_load_b128 v[96:99], v8 offset:1760
	v_lshlrev_b32_e32 v9, 5, v67
	s_waitcnt vmcnt(1) lgkmcnt(1)
	v_mul_f64 v[5:6], v[94:95], v[62:63]
	v_mul_f64 v[15:16], v[92:93], v[62:63]
	s_delay_alu instid0(VALU_DEP_2) | instskip(NEXT) | instid1(VALU_DEP_2)
	v_fma_f64 v[5:6], v[92:93], v[60:61], -v[5:6]
	v_fma_f64 v[15:16], v[94:95], v[60:61], v[15:16]
	ds_load_b128 v[92:95], v8 offset:5280
	ds_load_b128 v[136:139], v8 offset:6160
	s_clause 0x1
	global_load_b128 v[168:171], v4, s[2:3] offset:752
	global_load_b128 v[172:175], v4, s[2:3] offset:736
	s_waitcnt vmcnt(2) lgkmcnt(1)
	v_mul_f64 v[17:18], v[94:95], v[102:103]
	v_mul_f64 v[19:20], v[92:93], v[102:103]
	s_waitcnt lgkmcnt(0)
	v_mul_f64 v[33:34], v[138:139], v[102:103]
	v_mul_f64 v[35:36], v[136:137], v[102:103]
	s_delay_alu instid0(VALU_DEP_4) | instskip(NEXT) | instid1(VALU_DEP_4)
	v_fma_f64 v[17:18], v[92:93], v[100:101], -v[17:18]
	v_fma_f64 v[19:20], v[94:95], v[100:101], v[19:20]
	ds_load_b128 v[92:95], v8 offset:10560
	ds_load_b128 v[140:143], v8 offset:11440
	v_fma_f64 v[33:34], v[136:137], v[100:101], -v[33:34]
	v_fma_f64 v[35:36], v[138:139], v[100:101], v[35:36]
	s_waitcnt vmcnt(1) lgkmcnt(1)
	v_mul_f64 v[21:22], v[94:95], v[170:171]
	v_mul_f64 v[23:24], v[92:93], v[170:171]
	s_waitcnt lgkmcnt(0)
	v_mul_f64 v[41:42], v[142:143], v[170:171]
	s_delay_alu instid0(VALU_DEP_3) | instskip(NEXT) | instid1(VALU_DEP_3)
	v_fma_f64 v[21:22], v[92:93], v[168:169], -v[21:22]
	v_fma_f64 v[23:24], v[94:95], v[168:169], v[23:24]
	ds_load_b128 v[92:95], v8 offset:7920
	ds_load_b128 v[144:147], v8 offset:7040
	v_fma_f64 v[41:42], v[140:141], v[168:169], -v[41:42]
	s_waitcnt vmcnt(0) lgkmcnt(1)
	v_mul_f64 v[25:26], v[94:95], v[174:175]
	v_mul_f64 v[27:28], v[92:93], v[174:175]
	v_add_f64 v[156:157], v[5:6], -v[21:22]
	v_add_f64 v[152:153], v[15:16], -v[23:24]
	s_delay_alu instid0(VALU_DEP_4) | instskip(NEXT) | instid1(VALU_DEP_4)
	v_fma_f64 v[25:26], v[92:93], v[172:173], -v[25:26]
	v_fma_f64 v[27:28], v[94:95], v[172:173], v[27:28]
	ds_load_b128 v[92:95], v8 offset:3520
	ds_load_b128 v[148:151], v8 offset:4400
	s_waitcnt lgkmcnt(1)
	v_mul_f64 v[29:30], v[94:95], v[62:63]
	v_mul_f64 v[31:32], v[92:93], v[62:63]
	v_add_f64 v[158:159], v[17:18], -v[25:26]
	v_add_f64 v[154:155], v[19:20], -v[27:28]
	s_delay_alu instid0(VALU_DEP_4) | instskip(NEXT) | instid1(VALU_DEP_4)
	v_fma_f64 v[29:30], v[92:93], v[60:61], -v[29:30]
	v_fma_f64 v[31:32], v[94:95], v[60:61], v[31:32]
	ds_load_b128 v[92:95], v8 offset:8800
	ds_load_b128 v[136:139], v8 offset:9680
	s_clause 0x3
	global_load_b128 v[184:187], v7, s[2:3] offset:704
	global_load_b128 v[176:179], v7, s[2:3] offset:720
	;; [unrolled: 1-line block ×4, first 2 shown]
	s_waitcnt lgkmcnt(1)
	v_mul_f64 v[37:38], v[94:95], v[174:175]
	v_mul_f64 v[39:40], v[92:93], v[174:175]
	s_delay_alu instid0(VALU_DEP_2) | instskip(SKIP_1) | instid1(VALU_DEP_3)
	v_fma_f64 v[37:38], v[92:93], v[172:173], -v[37:38]
	v_mul_f64 v[92:93], v[140:141], v[170:171]
	v_fma_f64 v[39:40], v[94:95], v[172:173], v[39:40]
	v_add_f64 v[140:141], v[17:18], v[25:26]
	s_delay_alu instid0(VALU_DEP_4) | instskip(NEXT) | instid1(VALU_DEP_4)
	v_add_f64 v[166:167], v[33:34], -v[37:38]
	v_fma_f64 v[164:165], v[142:143], v[168:169], v[92:93]
	s_waitcnt vmcnt(3)
	v_mul_f64 v[92:93], v[150:151], v[186:187]
	s_delay_alu instid0(VALU_DEP_1) | instskip(SKIP_1) | instid1(VALU_DEP_1)
	v_fma_f64 v[204:205], v[148:149], v[184:185], -v[92:93]
	v_mul_f64 v[92:93], v[148:149], v[186:187]
	v_fma_f64 v[206:207], v[150:151], v[184:185], v[92:93]
	s_waitcnt vmcnt(2)
	v_mul_f64 v[92:93], v[146:147], v[178:179]
	s_delay_alu instid0(VALU_DEP_1) | instskip(SKIP_1) | instid1(VALU_DEP_1)
	v_fma_f64 v[208:209], v[144:145], v[176:177], -v[92:93]
	v_mul_f64 v[92:93], v[144:145], v[178:179]
	v_fma_f64 v[210:211], v[146:147], v[176:177], v[92:93]
	s_waitcnt vmcnt(1) lgkmcnt(0)
	v_mul_f64 v[92:93], v[138:139], v[190:191]
	s_delay_alu instid0(VALU_DEP_1) | instskip(SKIP_1) | instid1(VALU_DEP_1)
	v_fma_f64 v[212:213], v[136:137], v[188:189], -v[92:93]
	v_mul_f64 v[92:93], v[136:137], v[190:191]
	v_fma_f64 v[214:215], v[138:139], v[188:189], v[92:93]
	ds_load_b128 v[92:95], v8 offset:12320
	s_waitcnt vmcnt(0) lgkmcnt(0)
	v_mul_f64 v[136:137], v[94:95], v[182:183]
	s_delay_alu instid0(VALU_DEP_1) | instskip(SKIP_1) | instid1(VALU_DEP_1)
	v_fma_f64 v[216:217], v[92:93], v[180:181], -v[136:137]
	v_mul_f64 v[92:93], v[92:93], v[182:183]
	v_fma_f64 v[218:219], v[94:95], v[180:181], v[92:93]
	v_add_f64 v[92:93], v[5:6], -v[17:18]
	v_add_f64 v[94:95], v[21:22], -v[25:26]
	s_delay_alu instid0(VALU_DEP_1) | instskip(SKIP_2) | instid1(VALU_DEP_1)
	v_add_f64 v[144:145], v[92:93], v[94:95]
	v_add_f64 v[92:93], v[15:16], -v[19:20]
	v_add_f64 v[94:95], v[23:24], -v[27:28]
	v_add_f64 v[146:147], v[92:93], v[94:95]
	ds_load_b128 v[92:95], v8
	ds_load_b128 v[136:139], v8 offset:880
	s_waitcnt lgkmcnt(0)
	s_barrier
	buffer_gl0_inv
	v_fma_f64 v[148:149], v[140:141], -0.5, v[92:93]
	v_add_f64 v[140:141], v[19:20], v[27:28]
	s_delay_alu instid0(VALU_DEP_1) | instskip(NEXT) | instid1(VALU_DEP_3)
	v_fma_f64 v[150:151], v[140:141], -0.5, v[94:95]
	v_fma_f64 v[140:141], v[152:153], s[12:13], v[148:149]
	v_fma_f64 v[148:149], v[152:153], s[14:15], v[148:149]
	s_delay_alu instid0(VALU_DEP_3) | instskip(SKIP_1) | instid1(VALU_DEP_4)
	v_fma_f64 v[142:143], v[156:157], s[14:15], v[150:151]
	v_fma_f64 v[150:151], v[156:157], s[12:13], v[150:151]
	;; [unrolled: 1-line block ×3, first 2 shown]
	s_delay_alu instid0(VALU_DEP_4) | instskip(NEXT) | instid1(VALU_DEP_4)
	v_fma_f64 v[148:149], v[154:155], s[8:9], v[148:149]
	v_fma_f64 v[142:143], v[158:159], s[8:9], v[142:143]
	s_delay_alu instid0(VALU_DEP_4) | instskip(NEXT) | instid1(VALU_DEP_4)
	v_fma_f64 v[150:151], v[158:159], s[0:1], v[150:151]
	v_fma_f64 v[140:141], v[144:145], s[16:17], v[140:141]
	s_delay_alu instid0(VALU_DEP_4) | instskip(SKIP_4) | instid1(VALU_DEP_4)
	v_fma_f64 v[144:145], v[144:145], s[16:17], v[148:149]
	v_add_f64 v[148:149], v[5:6], v[21:22]
	v_fma_f64 v[142:143], v[146:147], s[16:17], v[142:143]
	v_fma_f64 v[146:147], v[146:147], s[16:17], v[150:151]
	v_add_f64 v[150:151], v[15:16], v[23:24]
	v_fma_f64 v[148:149], v[148:149], -0.5, v[92:93]
	v_add_f64 v[92:93], v[92:93], v[5:6]
	v_add_f64 v[5:6], v[17:18], -v[5:6]
	s_delay_alu instid0(VALU_DEP_4) | instskip(SKIP_3) | instid1(VALU_DEP_3)
	v_fma_f64 v[150:151], v[150:151], -0.5, v[94:95]
	v_add_f64 v[94:95], v[94:95], v[15:16]
	v_add_f64 v[15:16], v[19:20], -v[15:16]
	v_add_f64 v[17:18], v[92:93], v[17:18]
	v_add_f64 v[92:93], v[94:95], v[19:20]
	s_delay_alu instid0(VALU_DEP_2) | instskip(SKIP_1) | instid1(VALU_DEP_3)
	v_add_f64 v[17:18], v[17:18], v[25:26]
	v_add_f64 v[25:26], v[25:26], -v[21:22]
	v_add_f64 v[19:20], v[92:93], v[27:28]
	s_delay_alu instid0(VALU_DEP_3)
	v_add_f64 v[92:93], v[17:18], v[21:22]
	v_add_f64 v[17:18], v[27:28], -v[23:24]
	v_fma_f64 v[21:22], v[154:155], s[12:13], v[148:149]
	v_fma_f64 v[27:28], v[158:159], s[14:15], v[150:151]
	v_add_f64 v[5:6], v[5:6], v[25:26]
	v_add_f64 v[94:95], v[19:20], v[23:24]
	v_fma_f64 v[19:20], v[154:155], s[14:15], v[148:149]
	v_fma_f64 v[23:24], v[158:159], s[12:13], v[150:151]
	v_add_f64 v[15:16], v[15:16], v[17:18]
	s_delay_alu instid0(VALU_DEP_3) | instskip(SKIP_1) | instid1(VALU_DEP_4)
	v_fma_f64 v[17:18], v[152:153], s[0:1], v[19:20]
	v_fma_f64 v[19:20], v[152:153], s[8:9], v[21:22]
	;; [unrolled: 1-line block ×4, first 2 shown]
	v_add_f64 v[27:28], v[29:30], -v[41:42]
	v_fma_f64 v[148:149], v[5:6], s[16:17], v[17:18]
	v_fma_f64 v[152:153], v[5:6], s[16:17], v[19:20]
	;; [unrolled: 1-line block ×4, first 2 shown]
	v_add_f64 v[5:6], v[29:30], -v[33:34]
	v_add_f64 v[15:16], v[41:42], -v[37:38]
	;; [unrolled: 1-line block ×3, first 2 shown]
	v_add_f64 v[19:20], v[35:36], v[39:40]
	v_add_f64 v[21:22], v[31:32], -v[164:165]
	v_add_f64 v[23:24], v[35:36], -v[39:40]
	v_add_f64 v[5:6], v[5:6], v[15:16]
	v_add_f64 v[15:16], v[31:32], -v[35:36]
	v_fma_f64 v[19:20], v[19:20], -0.5, v[138:139]
	s_delay_alu instid0(VALU_DEP_2) | instskip(SKIP_1) | instid1(VALU_DEP_3)
	v_add_f64 v[15:16], v[15:16], v[17:18]
	v_add_f64 v[17:18], v[33:34], v[37:38]
	v_fma_f64 v[156:157], v[27:28], s[14:15], v[19:20]
	v_fma_f64 v[19:20], v[27:28], s[12:13], v[19:20]
	s_delay_alu instid0(VALU_DEP_3) | instskip(NEXT) | instid1(VALU_DEP_3)
	v_fma_f64 v[17:18], v[17:18], -0.5, v[136:137]
	v_fma_f64 v[158:159], v[166:167], s[8:9], v[156:157]
	s_delay_alu instid0(VALU_DEP_3) | instskip(NEXT) | instid1(VALU_DEP_3)
	v_fma_f64 v[19:20], v[166:167], s[0:1], v[19:20]
	v_fma_f64 v[25:26], v[21:22], s[12:13], v[17:18]
	;; [unrolled: 1-line block ×3, first 2 shown]
	s_delay_alu instid0(VALU_DEP_3)
	v_fma_f64 v[162:163], v[15:16], s[16:17], v[19:20]
	v_add_f64 v[19:20], v[138:139], v[31:32]
	v_fma_f64 v[158:159], v[15:16], s[16:17], v[158:159]
	v_add_f64 v[15:16], v[31:32], v[164:165]
	v_fma_f64 v[25:26], v[23:24], s[0:1], v[25:26]
	v_fma_f64 v[17:18], v[23:24], s[8:9], v[17:18]
	v_add_f64 v[19:20], v[19:20], v[35:36]
	s_delay_alu instid0(VALU_DEP_4) | instskip(NEXT) | instid1(VALU_DEP_4)
	v_fma_f64 v[15:16], v[15:16], -0.5, v[138:139]
	v_fma_f64 v[156:157], v[5:6], s[16:17], v[25:26]
	s_delay_alu instid0(VALU_DEP_4)
	v_fma_f64 v[160:161], v[5:6], s[16:17], v[17:18]
	v_add_f64 v[17:18], v[136:137], v[29:30]
	v_add_f64 v[5:6], v[29:30], v[41:42]
	;; [unrolled: 1-line block ×3, first 2 shown]
	v_add_f64 v[25:26], v[33:34], -v[29:30]
	v_add_f64 v[29:30], v[35:36], -v[31:32]
	;; [unrolled: 1-line block ×3, first 2 shown]
	v_add_f64 v[17:18], v[17:18], v[33:34]
	v_fma_f64 v[5:6], v[5:6], -0.5, v[136:137]
	v_add_f64 v[138:139], v[19:20], v[164:165]
	v_add_f64 v[33:34], v[216:217], -v[212:213]
	v_add_f64 v[25:26], v[25:26], v[31:32]
	v_add_f64 v[17:18], v[17:18], v[37:38]
	v_fma_f64 v[19:20], v[23:24], s[14:15], v[5:6]
	v_fma_f64 v[5:6], v[23:24], s[12:13], v[5:6]
	;; [unrolled: 1-line block ×4, first 2 shown]
	v_add_f64 v[136:137], v[17:18], v[41:42]
	v_add_f64 v[17:18], v[39:40], -v[164:165]
	v_fma_f64 v[5:6], v[21:22], s[8:9], v[5:6]
	v_fma_f64 v[19:20], v[21:22], s[0:1], v[19:20]
	;; [unrolled: 1-line block ×4, first 2 shown]
	v_add_f64 v[27:28], v[208:209], -v[212:213]
	v_add_f64 v[23:24], v[206:207], -v[218:219]
	v_add_f64 v[17:18], v[29:30], v[17:18]
	v_fma_f64 v[192:193], v[25:26], s[16:17], v[5:6]
	v_add_f64 v[5:6], v[208:209], -v[204:205]
	v_fma_f64 v[164:165], v[25:26], s[16:17], v[19:20]
	v_add_f64 v[19:20], v[206:207], v[218:219]
	v_add_f64 v[29:30], v[204:205], -v[216:217]
	v_fma_f64 v[194:195], v[17:18], s[16:17], v[15:16]
	v_add_f64 v[15:16], v[212:213], -v[216:217]
	v_fma_f64 v[166:167], v[17:18], s[16:17], v[21:22]
	v_add_f64 v[17:18], v[214:215], -v[218:219]
	v_fma_f64 v[19:20], v[19:20], -0.5, v[98:99]
	v_add_f64 v[21:22], v[210:211], -v[214:215]
	ds_store_b128 v8, v[92:95]
	ds_store_b128 v8, v[140:143] offset:880
	ds_store_b128 v8, v[148:151] offset:1760
	;; [unrolled: 1-line block ×9, first 2 shown]
	v_add_f64 v[5:6], v[5:6], v[15:16]
	v_add_f64 v[15:16], v[210:211], -v[206:207]
	v_fma_f64 v[31:32], v[27:28], s[12:13], v[19:20]
	v_fma_f64 v[19:20], v[27:28], s[14:15], v[19:20]
	s_delay_alu instid0(VALU_DEP_3) | instskip(SKIP_1) | instid1(VALU_DEP_4)
	v_add_f64 v[15:16], v[15:16], v[17:18]
	v_add_f64 v[17:18], v[204:205], v[216:217]
	v_fma_f64 v[31:32], v[29:30], s[8:9], v[31:32]
	s_delay_alu instid0(VALU_DEP_4) | instskip(NEXT) | instid1(VALU_DEP_3)
	v_fma_f64 v[19:20], v[29:30], s[0:1], v[19:20]
	v_fma_f64 v[17:18], v[17:18], -0.5, v[96:97]
	s_delay_alu instid0(VALU_DEP_3) | instskip(NEXT) | instid1(VALU_DEP_3)
	v_fma_f64 v[198:199], v[15:16], s[16:17], v[31:32]
	v_fma_f64 v[202:203], v[15:16], s[16:17], v[19:20]
	v_add_f64 v[19:20], v[98:99], v[206:207]
	v_add_f64 v[15:16], v[210:211], v[214:215]
	v_add_f64 v[31:32], v[206:207], -v[210:211]
	v_fma_f64 v[25:26], v[21:22], s[14:15], v[17:18]
	v_fma_f64 v[17:18], v[21:22], s[12:13], v[17:18]
	v_add_f64 v[19:20], v[19:20], v[210:211]
	v_fma_f64 v[15:16], v[15:16], -0.5, v[98:99]
	s_delay_alu instid0(VALU_DEP_4) | instskip(NEXT) | instid1(VALU_DEP_4)
	v_fma_f64 v[25:26], v[23:24], s[0:1], v[25:26]
	v_fma_f64 v[17:18], v[23:24], s[8:9], v[17:18]
	s_delay_alu instid0(VALU_DEP_4) | instskip(NEXT) | instid1(VALU_DEP_3)
	v_add_f64 v[19:20], v[19:20], v[214:215]
	v_fma_f64 v[196:197], v[5:6], s[16:17], v[25:26]
	s_delay_alu instid0(VALU_DEP_3) | instskip(SKIP_4) | instid1(VALU_DEP_4)
	v_fma_f64 v[200:201], v[5:6], s[16:17], v[17:18]
	v_add_f64 v[17:18], v[96:97], v[204:205]
	v_add_f64 v[5:6], v[208:209], v[212:213]
	v_add_f64 v[25:26], v[204:205], -v[208:209]
	v_add_f64 v[98:99], v[19:20], v[218:219]
	v_add_f64 v[17:18], v[17:18], v[208:209]
	s_delay_alu instid0(VALU_DEP_4) | instskip(NEXT) | instid1(VALU_DEP_4)
	v_fma_f64 v[5:6], v[5:6], -0.5, v[96:97]
	v_add_f64 v[25:26], v[25:26], v[33:34]
	s_delay_alu instid0(VALU_DEP_3) | instskip(NEXT) | instid1(VALU_DEP_3)
	v_add_f64 v[17:18], v[17:18], v[212:213]
	v_fma_f64 v[19:20], v[23:24], s[12:13], v[5:6]
	v_fma_f64 v[5:6], v[23:24], s[14:15], v[5:6]
	;; [unrolled: 1-line block ×4, first 2 shown]
	v_add_f64 v[96:97], v[17:18], v[216:217]
	v_add_f64 v[17:18], v[218:219], -v[214:215]
	v_fma_f64 v[5:6], v[21:22], s[8:9], v[5:6]
	v_fma_f64 v[19:20], v[21:22], s[0:1], v[19:20]
	;; [unrolled: 1-line block ×4, first 2 shown]
	v_add_f64 v[17:18], v[31:32], v[17:18]
	v_fma_f64 v[208:209], v[25:26], s[16:17], v[5:6]
	v_fma_f64 v[204:205], v[25:26], s[16:17], v[19:20]
	s_delay_alu instid0(VALU_DEP_3)
	v_fma_f64 v[210:211], v[17:18], s[16:17], v[15:16]
	v_fma_f64 v[206:207], v[17:18], s[16:17], v[21:22]
	ds_store_b128 v3, v[96:99] offset:8800
	ds_store_b128 v3, v[204:207] offset:9680
	;; [unrolled: 1-line block ×4, first 2 shown]
	scratch_store_b32 off, v3, off offset:312 ; 4-byte Folded Spill
	ds_store_b128 v3, v[208:211] offset:12320
	v_add_co_u32 v3, s0, s2, v4
	s_delay_alu instid0(VALU_DEP_1) | instskip(SKIP_2) | instid1(VALU_DEP_2)
	v_add_co_ci_u32_e64 v4, null, s3, 0, s0
	s_waitcnt lgkmcnt(0)
	s_waitcnt_vscnt null, 0x0
	v_sub_co_u32 v5, s0, v3, v9
	s_delay_alu instid0(VALU_DEP_1) | instskip(SKIP_1) | instid1(VALU_DEP_2)
	v_subrev_co_ci_u32_e64 v6, s0, 0, v4, s0
	s_barrier
	v_add_co_u32 v3, s0, 0x1000, v5
	s_delay_alu instid0(VALU_DEP_1) | instskip(SKIP_1) | instid1(VALU_DEP_1)
	v_add_co_ci_u32_e64 v4, s0, 0, v6, s0
	v_add_co_u32 v5, s0, 0x1080, v5
	v_add_co_ci_u32_e64 v6, s0, 0, v6, s0
	buffer_gl0_inv
	s_clause 0x1
	global_load_b128 v[96:99], v[3:4], off offset:128
	global_load_b128 v[92:95], v[5:6], off offset:16
	ds_load_b128 v[3:6], v8 offset:4400
	ds_load_b128 v[196:199], v8 offset:3520
	s_waitcnt vmcnt(1) lgkmcnt(1)
	v_mul_f64 v[15:16], v[5:6], v[98:99]
	s_delay_alu instid0(VALU_DEP_1) | instskip(SKIP_1) | instid1(VALU_DEP_1)
	v_fma_f64 v[15:16], v[3:4], v[96:97], -v[15:16]
	v_mul_f64 v[3:4], v[3:4], v[98:99]
	v_fma_f64 v[17:18], v[5:6], v[96:97], v[3:4]
	ds_load_b128 v[3:6], v8 offset:8800
	ds_load_b128 v[144:147], v8 offset:9680
	s_waitcnt vmcnt(0) lgkmcnt(1)
	v_mul_f64 v[19:20], v[5:6], v[94:95]
	s_delay_alu instid0(VALU_DEP_1) | instskip(SKIP_1) | instid1(VALU_DEP_2)
	v_fma_f64 v[19:20], v[3:4], v[92:93], -v[19:20]
	v_mul_f64 v[3:4], v[3:4], v[94:95]
	v_add_f64 v[200:201], v[15:16], v[19:20]
	s_delay_alu instid0(VALU_DEP_2) | instskip(SKIP_1) | instid1(VALU_DEP_1)
	v_fma_f64 v[21:22], v[5:6], v[92:93], v[3:4]
	v_lshlrev_b32_e32 v3, 5, v14
	v_add_co_u32 v5, s0, s2, v3
	s_delay_alu instid0(VALU_DEP_1) | instskip(NEXT) | instid1(VALU_DEP_2)
	v_add_co_ci_u32_e64 v6, null, s3, 0, s0
	v_add_co_u32 v3, s0, 0x1000, v5
	s_delay_alu instid0(VALU_DEP_1) | instskip(SKIP_1) | instid1(VALU_DEP_1)
	v_add_co_ci_u32_e64 v4, s0, 0, v6, s0
	v_add_co_u32 v5, s0, 0x1080, v5
	v_add_co_ci_u32_e64 v6, s0, 0, v6, s0
	s_clause 0x1
	global_load_b128 v[140:143], v[3:4], off offset:128
	global_load_b128 v[136:139], v[5:6], off offset:16
	ds_load_b128 v[3:6], v8 offset:5280
	ds_load_b128 v[152:155], v8 offset:6160
	v_add_f64 v[202:203], v[17:18], v[21:22]
	s_waitcnt vmcnt(1) lgkmcnt(1)
	v_mul_f64 v[23:24], v[5:6], v[142:143]
	s_delay_alu instid0(VALU_DEP_1) | instskip(SKIP_1) | instid1(VALU_DEP_1)
	v_fma_f64 v[23:24], v[3:4], v[140:141], -v[23:24]
	v_mul_f64 v[3:4], v[3:4], v[142:143]
	v_fma_f64 v[6:7], v[5:6], v[140:141], v[3:4]
	s_waitcnt vmcnt(0)
	v_mul_f64 v[3:4], v[146:147], v[138:139]
	s_delay_alu instid0(VALU_DEP_1) | instskip(SKIP_1) | instid1(VALU_DEP_1)
	v_fma_f64 v[25:26], v[144:145], v[136:137], -v[3:4]
	v_mul_f64 v[3:4], v[144:145], v[138:139]
	v_fma_f64 v[27:28], v[146:147], v[136:137], v[3:4]
	v_add_co_u32 v4, s0, s2, v2
	s_delay_alu instid0(VALU_DEP_1) | instskip(NEXT) | instid1(VALU_DEP_2)
	v_add_co_ci_u32_e64 v5, null, s3, 0, s0
	v_add_co_u32 v2, s0, 0x1000, v4
	s_delay_alu instid0(VALU_DEP_1) | instskip(SKIP_1) | instid1(VALU_DEP_1)
	v_add_co_ci_u32_e64 v3, s0, 0, v5, s0
	v_add_co_u32 v4, s0, 0x1080, v4
	v_add_co_ci_u32_e64 v5, s0, 0, v5, s0
	s_clause 0x1
	global_load_b128 v[148:151], v[2:3], off offset:128
	global_load_b128 v[144:147], v[4:5], off offset:16
	s_waitcnt vmcnt(1) lgkmcnt(0)
	v_mul_f64 v[2:3], v[154:155], v[150:151]
	s_delay_alu instid0(VALU_DEP_1) | instskip(SKIP_1) | instid1(VALU_DEP_1)
	v_fma_f64 v[29:30], v[152:153], v[148:149], -v[2:3]
	v_mul_f64 v[2:3], v[152:153], v[150:151]
	v_fma_f64 v[31:32], v[154:155], v[148:149], v[2:3]
	ds_load_b128 v[2:5], v8 offset:10560
	ds_load_b128 v[160:163], v8 offset:11440
	s_waitcnt vmcnt(0) lgkmcnt(1)
	v_mul_f64 v[33:34], v[4:5], v[146:147]
	s_delay_alu instid0(VALU_DEP_1) | instskip(SKIP_1) | instid1(VALU_DEP_1)
	v_fma_f64 v[33:34], v[2:3], v[144:145], -v[33:34]
	v_mul_f64 v[2:3], v[2:3], v[146:147]
	v_fma_f64 v[35:36], v[4:5], v[144:145], v[2:3]
	v_add_nc_u32_e32 v2, 0x14a0, v9
	s_delay_alu instid0(VALU_DEP_1) | instskip(NEXT) | instid1(VALU_DEP_1)
	v_add_co_u32 v4, s0, s2, v2
	v_add_co_ci_u32_e64 v5, null, s3, 0, s0
	s_delay_alu instid0(VALU_DEP_2) | instskip(NEXT) | instid1(VALU_DEP_1)
	v_add_co_u32 v2, s0, 0x1000, v4
	v_add_co_ci_u32_e64 v3, s0, 0, v5, s0
	v_add_co_u32 v4, s0, 0x1080, v4
	s_delay_alu instid0(VALU_DEP_1)
	v_add_co_ci_u32_e64 v5, s0, 0, v5, s0
	s_clause 0x1
	global_load_b128 v[156:159], v[2:3], off offset:128
	global_load_b128 v[152:155], v[4:5], off offset:16
	ds_load_b128 v[2:5], v8 offset:7040
	ds_load_b128 v[192:195], v8 offset:7920
	s_waitcnt vmcnt(1) lgkmcnt(1)
	v_mul_f64 v[37:38], v[4:5], v[158:159]
	s_delay_alu instid0(VALU_DEP_1) | instskip(SKIP_1) | instid1(VALU_DEP_1)
	v_fma_f64 v[37:38], v[2:3], v[156:157], -v[37:38]
	v_mul_f64 v[2:3], v[2:3], v[158:159]
	v_fma_f64 v[39:40], v[4:5], v[156:157], v[2:3]
	s_waitcnt vmcnt(0)
	v_mul_f64 v[2:3], v[162:163], v[154:155]
	s_delay_alu instid0(VALU_DEP_1) | instskip(SKIP_1) | instid1(VALU_DEP_1)
	v_fma_f64 v[41:42], v[160:161], v[152:153], -v[2:3]
	v_mul_f64 v[2:3], v[160:161], v[154:155]
	v_fma_f64 v[204:205], v[162:163], v[152:153], v[2:3]
	v_add_nc_u32_e32 v2, 0x1b80, v9
	s_delay_alu instid0(VALU_DEP_1) | instskip(NEXT) | instid1(VALU_DEP_1)
	v_add_co_u32 v4, s0, s2, v2
	v_add_co_ci_u32_e64 v5, null, s3, 0, s0
	s_mov_b32 s3, 0xbfebb67a
	s_delay_alu instid0(VALU_DEP_2) | instskip(NEXT) | instid1(VALU_DEP_1)
	v_add_co_u32 v2, s0, 0x1000, v4
	v_add_co_ci_u32_e64 v3, s0, 0, v5, s0
	v_add_co_u32 v4, s0, 0x1080, v4
	s_delay_alu instid0(VALU_DEP_1)
	v_add_co_ci_u32_e64 v5, s0, 0, v5, s0
	s_clause 0x1
	global_load_b128 v[164:167], v[2:3], off offset:128
	global_load_b128 v[160:163], v[4:5], off offset:16
	s_mov_b32 s0, 0xe8584caa
	s_mov_b32 s1, 0x3febb67a
	;; [unrolled: 1-line block ×3, first 2 shown]
	s_waitcnt vmcnt(1) lgkmcnt(0)
	v_mul_f64 v[2:3], v[194:195], v[166:167]
	s_delay_alu instid0(VALU_DEP_1) | instskip(SKIP_1) | instid1(VALU_DEP_1)
	v_fma_f64 v[206:207], v[192:193], v[164:165], -v[2:3]
	v_mul_f64 v[2:3], v[192:193], v[166:167]
	v_fma_f64 v[248:249], v[194:195], v[164:165], v[2:3]
	ds_load_b128 v[2:5], v8 offset:12320
	s_waitcnt vmcnt(0) lgkmcnt(0)
	v_mul_f64 v[192:193], v[4:5], v[162:163]
	s_delay_alu instid0(VALU_DEP_1) | instskip(SKIP_1) | instid1(VALU_DEP_1)
	v_fma_f64 v[250:251], v[2:3], v[160:161], -v[192:193]
	v_mul_f64 v[2:3], v[2:3], v[162:163]
	v_fma_f64 v[252:253], v[4:5], v[160:161], v[2:3]
	ds_load_b128 v[2:5], v8
	ds_load_b128 v[192:195], v8 offset:880
	s_waitcnt lgkmcnt(1)
	v_fma_f64 v[200:201], v[200:201], -0.5, v[2:3]
	v_fma_f64 v[202:203], v[202:203], -0.5, v[4:5]
	v_add_f64 v[4:5], v[4:5], v[17:18]
	v_add_f64 v[2:3], v[2:3], v[15:16]
	v_add_f64 v[17:18], v[17:18], -v[21:22]
	v_add_f64 v[14:15], v[15:16], -v[19:20]
	s_delay_alu instid0(VALU_DEP_4) | instskip(NEXT) | instid1(VALU_DEP_4)
	v_add_f64 v[4:5], v[4:5], v[21:22]
	v_add_f64 v[2:3], v[2:3], v[19:20]
	s_delay_alu instid0(VALU_DEP_4)
	v_fma_f64 v[208:209], v[17:18], s[0:1], v[200:201]
	v_fma_f64 v[212:213], v[17:18], s[2:3], v[200:201]
	;; [unrolled: 1-line block ×4, first 2 shown]
	v_add_f64 v[14:15], v[23:24], v[25:26]
	v_add_f64 v[16:17], v[6:7], v[27:28]
	s_waitcnt lgkmcnt(0)
	v_add_f64 v[18:19], v[194:195], v[6:7]
	v_add_f64 v[6:7], v[6:7], -v[27:28]
	v_add_f64 v[20:21], v[192:193], v[23:24]
	v_fma_f64 v[14:15], v[14:15], -0.5, v[192:193]
	v_fma_f64 v[16:17], v[16:17], -0.5, v[194:195]
	v_add_f64 v[218:219], v[18:19], v[27:28]
	v_add_f64 v[18:19], v[23:24], -v[25:26]
	ds_load_b128 v[192:195], v8 offset:1760
	ds_load_b128 v[200:203], v8 offset:2640
	v_add_f64 v[216:217], v[20:21], v[25:26]
	v_add_f64 v[20:21], v[31:32], -v[35:36]
	v_fma_f64 v[220:221], v[6:7], s[0:1], v[14:15]
	v_fma_f64 v[224:225], v[6:7], s[2:3], v[14:15]
	v_add_f64 v[6:7], v[29:30], v[33:34]
	v_fma_f64 v[222:223], v[18:19], s[2:3], v[16:17]
	v_fma_f64 v[226:227], v[18:19], s[0:1], v[16:17]
	v_add_f64 v[14:15], v[31:32], v[35:36]
	s_waitcnt lgkmcnt(1)
	v_add_f64 v[16:17], v[194:195], v[31:32]
	v_add_f64 v[18:19], v[192:193], v[29:30]
	v_fma_f64 v[6:7], v[6:7], -0.5, v[192:193]
	s_delay_alu instid0(VALU_DEP_4) | instskip(NEXT) | instid1(VALU_DEP_4)
	v_fma_f64 v[14:15], v[14:15], -0.5, v[194:195]
	v_add_f64 v[230:231], v[16:17], v[35:36]
	v_add_f64 v[16:17], v[29:30], -v[33:34]
	v_add_f64 v[228:229], v[18:19], v[33:34]
	s_waitcnt lgkmcnt(0)
	v_add_f64 v[18:19], v[200:201], v[37:38]
	v_fma_f64 v[232:233], v[20:21], s[0:1], v[6:7]
	v_fma_f64 v[236:237], v[20:21], s[2:3], v[6:7]
	v_add_f64 v[6:7], v[37:38], v[41:42]
	v_add_f64 v[20:21], v[39:40], -v[204:205]
	v_fma_f64 v[234:235], v[16:17], s[2:3], v[14:15]
	v_fma_f64 v[238:239], v[16:17], s[0:1], v[14:15]
	v_add_f64 v[14:15], v[39:40], v[204:205]
	v_add_f64 v[16:17], v[202:203], v[39:40]
	;; [unrolled: 1-line block ×4, first 2 shown]
	v_fma_f64 v[6:7], v[6:7], -0.5, v[200:201]
	v_fma_f64 v[14:15], v[14:15], -0.5, v[202:203]
	v_add_f64 v[242:243], v[16:17], v[204:205]
	v_add_f64 v[16:17], v[37:38], -v[41:42]
	s_delay_alu instid0(VALU_DEP_4)
	v_fma_f64 v[244:245], v[20:21], s[0:1], v[6:7]
	v_fma_f64 v[192:193], v[20:21], s[2:3], v[6:7]
	v_add_f64 v[6:7], v[206:207], v[250:251]
	v_add_f64 v[20:21], v[248:249], -v[252:253]
	v_fma_f64 v[194:195], v[16:17], s[0:1], v[14:15]
	v_fma_f64 v[246:247], v[16:17], s[2:3], v[14:15]
	v_add_f64 v[14:15], v[248:249], v[252:253]
	v_add_f64 v[16:17], v[198:199], v[248:249]
	ds_store_b128 v8, v[2:5]
	ds_store_b128 v8, v[216:219] offset:880
	ds_store_b128 v8, v[228:231] offset:1760
	;; [unrolled: 1-line block ×10, first 2 shown]
	v_fma_f64 v[6:7], v[6:7], -0.5, v[196:197]
	v_add_f64 v[196:197], v[18:19], v[250:251]
	v_fma_f64 v[14:15], v[14:15], -0.5, v[198:199]
	v_add_f64 v[198:199], v[16:17], v[252:253]
	v_add_f64 v[16:17], v[206:207], -v[250:251]
	v_fma_f64 v[200:201], v[20:21], s[0:1], v[6:7]
	v_fma_f64 v[204:205], v[20:21], s[2:3], v[6:7]
	s_delay_alu instid0(VALU_DEP_3) | instskip(SKIP_2) | instid1(VALU_DEP_1)
	v_fma_f64 v[202:203], v[16:17], s[2:3], v[14:15]
	v_fma_f64 v[206:207], v[16:17], s[0:1], v[14:15]
	v_add_co_u32 v2, s0, 0x3000, v0
	v_add_co_ci_u32_e64 v3, s0, 0, v1, s0
	ds_store_b128 v8, v[196:199] offset:3520
	ds_store_b128 v8, v[192:195] offset:11440
	;; [unrolled: 1-line block ×4, first 2 shown]
	s_waitcnt lgkmcnt(0)
	s_barrier
	buffer_gl0_inv
	scratch_store_b64 off, v[2:3], off offset:320 ; 8-byte Folded Spill
	global_load_b128 v[2:5], v[2:3], off offset:912
	ds_load_b128 v[208:211], v8
	ds_load_b128 v[212:215], v8 offset:1200
	s_waitcnt vmcnt(0) lgkmcnt(1)
	v_mul_f64 v[6:7], v[210:211], v[4:5]
	v_mul_f64 v[14:15], v[208:209], v[4:5]
	s_delay_alu instid0(VALU_DEP_2) | instskip(SKIP_1) | instid1(VALU_DEP_1)
	v_fma_f64 v[4:5], v[208:209], v[2:3], -v[6:7]
	v_add_co_u32 v208, s0, 0x3390, v0
	v_add_co_ci_u32_e64 v209, s0, 0, v1, s0
	s_clause 0x1
	global_load_b128 v[216:219], v[208:209], off offset:1200
	global_load_b128 v[220:223], v[208:209], off offset:2400
	v_fma_f64 v[6:7], v[210:211], v[2:3], v[14:15]
	s_waitcnt vmcnt(1) lgkmcnt(0)
	v_mul_f64 v[2:3], v[214:215], v[218:219]
	v_mul_f64 v[14:15], v[212:213], v[218:219]
	s_delay_alu instid0(VALU_DEP_2) | instskip(NEXT) | instid1(VALU_DEP_2)
	v_fma_f64 v[210:211], v[212:213], v[216:217], -v[2:3]
	v_fma_f64 v[212:213], v[214:215], v[216:217], v[14:15]
	ds_load_b128 v[214:217], v8 offset:2400
	ds_load_b128 v[224:227], v8 offset:3600
	s_waitcnt vmcnt(0) lgkmcnt(1)
	v_mul_f64 v[2:3], v[216:217], v[222:223]
	v_mul_f64 v[14:15], v[214:215], v[222:223]
	s_delay_alu instid0(VALU_DEP_2) | instskip(SKIP_1) | instid1(VALU_DEP_1)
	v_fma_f64 v[214:215], v[214:215], v[220:221], -v[2:3]
	v_add_co_u32 v2, s0, 0x4000, v0
	v_add_co_ci_u32_e64 v3, s0, 0, v1, s0
	s_delay_alu instid0(VALU_DEP_4)
	v_fma_f64 v[216:217], v[216:217], v[220:221], v[14:15]
	s_clause 0x1
	global_load_b128 v[218:221], v[208:209], off offset:3600
	global_load_b128 v[228:231], v[2:3], off offset:1616
	s_waitcnt vmcnt(1) lgkmcnt(0)
	v_mul_f64 v[14:15], v[226:227], v[220:221]
	v_mul_f64 v[16:17], v[224:225], v[220:221]
	s_delay_alu instid0(VALU_DEP_2) | instskip(NEXT) | instid1(VALU_DEP_2)
	v_fma_f64 v[220:221], v[224:225], v[218:219], -v[14:15]
	v_fma_f64 v[222:223], v[226:227], v[218:219], v[16:17]
	ds_load_b128 v[224:227], v8 offset:4800
	ds_load_b128 v[232:235], v8 offset:6000
	s_waitcnt vmcnt(0) lgkmcnt(1)
	v_mul_f64 v[14:15], v[226:227], v[230:231]
	v_mul_f64 v[16:17], v[224:225], v[230:231]
	s_delay_alu instid0(VALU_DEP_2) | instskip(NEXT) | instid1(VALU_DEP_2)
	v_fma_f64 v[224:225], v[224:225], v[228:229], -v[14:15]
	v_fma_f64 v[226:227], v[226:227], v[228:229], v[16:17]
	s_clause 0x1
	global_load_b128 v[228:231], v[2:3], off offset:2816
	global_load_b128 v[236:239], v[2:3], off offset:4016
	ds_load_b128 v[240:243], v8 offset:7200
	ds_load_b128 v[244:247], v8 offset:8400
	s_waitcnt vmcnt(1) lgkmcnt(2)
	v_mul_f64 v[2:3], v[234:235], v[230:231]
	v_mul_f64 v[14:15], v[232:233], v[230:231]
	s_delay_alu instid0(VALU_DEP_2) | instskip(SKIP_2) | instid1(VALU_DEP_3)
	v_fma_f64 v[230:231], v[232:233], v[228:229], -v[2:3]
	s_waitcnt vmcnt(0) lgkmcnt(1)
	v_mul_f64 v[2:3], v[242:243], v[238:239]
	v_fma_f64 v[232:233], v[234:235], v[228:229], v[14:15]
	v_mul_f64 v[14:15], v[240:241], v[238:239]
	s_delay_alu instid0(VALU_DEP_3) | instskip(SKIP_1) | instid1(VALU_DEP_1)
	v_fma_f64 v[234:235], v[240:241], v[236:237], -v[2:3]
	v_add_co_u32 v2, s0, 0x5000, v0
	v_add_co_ci_u32_e64 v3, s0, 0, v1, s0
	s_clause 0x1
	global_load_b128 v[238:241], v[2:3], off offset:1120
	global_load_b128 v[248:251], v[2:3], off offset:2320
	v_fma_f64 v[236:237], v[242:243], v[236:237], v[14:15]
	s_waitcnt vmcnt(1) lgkmcnt(0)
	v_mul_f64 v[14:15], v[246:247], v[240:241]
	v_mul_f64 v[16:17], v[244:245], v[240:241]
	s_delay_alu instid0(VALU_DEP_2) | instskip(NEXT) | instid1(VALU_DEP_2)
	v_fma_f64 v[240:241], v[244:245], v[238:239], -v[14:15]
	v_fma_f64 v[242:243], v[246:247], v[238:239], v[16:17]
	ds_load_b128 v[244:247], v8 offset:9600
	ds_load_b128 v[14:17], v8 offset:10800
	s_waitcnt vmcnt(0) lgkmcnt(1)
	v_mul_f64 v[18:19], v[246:247], v[250:251]
	v_mul_f64 v[20:21], v[244:245], v[250:251]
	s_delay_alu instid0(VALU_DEP_2) | instskip(SKIP_1) | instid1(VALU_DEP_1)
	v_fma_f64 v[244:245], v[244:245], v[248:249], -v[18:19]
	v_add_co_u32 v18, s0, 0x6000, v0
	v_add_co_ci_u32_e64 v19, s0, 0, v1, s0
	s_delay_alu instid0(VALU_DEP_4)
	v_fma_f64 v[246:247], v[246:247], v[248:249], v[20:21]
	s_clause 0x1
	global_load_b128 v[248:251], v[2:3], off offset:3520
	global_load_b128 v[18:21], v[18:19], off offset:624
	s_waitcnt vmcnt(1) lgkmcnt(0)
	v_mul_f64 v[2:3], v[16:17], v[250:251]
	v_mul_f64 v[22:23], v[14:15], v[250:251]
	s_delay_alu instid0(VALU_DEP_2) | instskip(NEXT) | instid1(VALU_DEP_2)
	v_fma_f64 v[14:15], v[14:15], v[248:249], -v[2:3]
	v_fma_f64 v[16:17], v[16:17], v[248:249], v[22:23]
	ds_load_b128 v[248:251], v8 offset:12000
	s_waitcnt vmcnt(0) lgkmcnt(0)
	v_mul_f64 v[2:3], v[250:251], v[20:21]
	v_mul_f64 v[22:23], v[248:249], v[20:21]
	s_delay_alu instid0(VALU_DEP_2) | instskip(NEXT) | instid1(VALU_DEP_2)
	v_fma_f64 v[20:21], v[248:249], v[18:19], -v[2:3]
	v_fma_f64 v[22:23], v[250:251], v[18:19], v[22:23]
	ds_store_b128 v8, v[4:7]
	ds_store_b128 v8, v[210:213] offset:1200
	ds_store_b128 v8, v[214:217] offset:2400
	;; [unrolled: 1-line block ×10, first 2 shown]
	s_and_saveexec_b32 s1, vcc_lo
	s_cbranch_execz .LBB0_9
; %bb.8:
	s_clause 0x2
	global_load_b128 v[2:5], v[208:209], off offset:880
	global_load_b128 v[14:17], v[208:209], off offset:2080
	;; [unrolled: 1-line block ×3, first 2 shown]
	v_add_co_u32 v24, s0, 0x1000, v208
	s_delay_alu instid0(VALU_DEP_1)
	v_add_co_ci_u32_e64 v25, s0, 0, v209, s0
	s_clause 0x2
	global_load_b128 v[210:213], v[24:25], off offset:384
	global_load_b128 v[214:217], v[24:25], off offset:1584
	;; [unrolled: 1-line block ×3, first 2 shown]
	ds_load_b128 v[222:225], v8 offset:880
	ds_load_b128 v[226:229], v8 offset:2080
	s_waitcnt vmcnt(5) lgkmcnt(1)
	v_mul_f64 v[6:7], v[224:225], v[4:5]
	v_mul_f64 v[22:23], v[222:223], v[4:5]
	s_delay_alu instid0(VALU_DEP_2) | instskip(NEXT) | instid1(VALU_DEP_2)
	v_fma_f64 v[4:5], v[222:223], v[2:3], -v[6:7]
	v_fma_f64 v[6:7], v[224:225], v[2:3], v[22:23]
	s_waitcnt vmcnt(4) lgkmcnt(0)
	v_mul_f64 v[2:3], v[228:229], v[16:17]
	v_mul_f64 v[16:17], v[226:227], v[16:17]
	ds_load_b128 v[222:225], v8 offset:3280
	v_fma_f64 v[226:227], v[226:227], v[14:15], -v[2:3]
	v_fma_f64 v[228:229], v[228:229], v[14:15], v[16:17]
	ds_load_b128 v[14:17], v8 offset:4480
	s_waitcnt vmcnt(3) lgkmcnt(1)
	v_mul_f64 v[2:3], v[224:225], v[20:21]
	v_mul_f64 v[22:23], v[222:223], v[20:21]
	s_delay_alu instid0(VALU_DEP_2) | instskip(NEXT) | instid1(VALU_DEP_2)
	v_fma_f64 v[20:21], v[222:223], v[18:19], -v[2:3]
	v_fma_f64 v[22:23], v[224:225], v[18:19], v[22:23]
	s_waitcnt vmcnt(2) lgkmcnt(0)
	v_mul_f64 v[2:3], v[16:17], v[212:213]
	v_mul_f64 v[18:19], v[14:15], v[212:213]
	ds_load_b128 v[222:225], v8 offset:5680
	v_fma_f64 v[14:15], v[14:15], v[210:211], -v[2:3]
	v_fma_f64 v[16:17], v[16:17], v[210:211], v[18:19]
	ds_load_b128 v[210:213], v8 offset:6880
	s_waitcnt vmcnt(1) lgkmcnt(1)
	v_mul_f64 v[2:3], v[224:225], v[216:217]
	v_mul_f64 v[18:19], v[222:223], v[216:217]
	s_delay_alu instid0(VALU_DEP_2) | instskip(NEXT) | instid1(VALU_DEP_2)
	v_fma_f64 v[222:223], v[222:223], v[214:215], -v[2:3]
	v_fma_f64 v[224:225], v[224:225], v[214:215], v[18:19]
	global_load_b128 v[214:217], v[24:25], off offset:3984
	s_waitcnt vmcnt(1) lgkmcnt(0)
	v_mul_f64 v[2:3], v[212:213], v[220:221]
	v_mul_f64 v[18:19], v[210:211], v[220:221]
	v_add_co_u32 v24, s0, 0x2000, v208
	s_delay_alu instid0(VALU_DEP_1) | instskip(NEXT) | instid1(VALU_DEP_4)
	v_add_co_ci_u32_e64 v25, s0, 0, v209, s0
	v_fma_f64 v[210:211], v[210:211], v[218:219], -v[2:3]
	s_delay_alu instid0(VALU_DEP_4)
	v_fma_f64 v[212:213], v[212:213], v[218:219], v[18:19]
	global_load_b128 v[218:221], v[24:25], off offset:1088
	ds_load_b128 v[230:233], v8 offset:8080
	ds_load_b128 v[234:237], v8 offset:9280
	s_waitcnt vmcnt(1) lgkmcnt(1)
	v_mul_f64 v[2:3], v[232:233], v[216:217]
	v_mul_f64 v[18:19], v[230:231], v[216:217]
	s_delay_alu instid0(VALU_DEP_2) | instskip(NEXT) | instid1(VALU_DEP_2)
	v_fma_f64 v[230:231], v[230:231], v[214:215], -v[2:3]
	v_fma_f64 v[232:233], v[232:233], v[214:215], v[18:19]
	s_waitcnt vmcnt(0) lgkmcnt(0)
	v_mul_f64 v[2:3], v[236:237], v[220:221]
	v_mul_f64 v[18:19], v[234:235], v[220:221]
	s_delay_alu instid0(VALU_DEP_2) | instskip(NEXT) | instid1(VALU_DEP_2)
	v_fma_f64 v[214:215], v[234:235], v[218:219], -v[2:3]
	v_fma_f64 v[216:217], v[236:237], v[218:219], v[18:19]
	s_clause 0x1
	global_load_b128 v[218:221], v[24:25], off offset:2288
	global_load_b128 v[234:237], v[24:25], off offset:3488
	ds_load_b128 v[238:241], v8 offset:10480
	ds_load_b128 v[242:245], v8 offset:11680
	s_waitcnt vmcnt(1) lgkmcnt(1)
	v_mul_f64 v[2:3], v[240:241], v[220:221]
	v_mul_f64 v[18:19], v[238:239], v[220:221]
	s_delay_alu instid0(VALU_DEP_2) | instskip(SKIP_2) | instid1(VALU_DEP_3)
	v_fma_f64 v[238:239], v[238:239], v[218:219], -v[2:3]
	s_waitcnt vmcnt(0) lgkmcnt(0)
	v_mul_f64 v[2:3], v[244:245], v[236:237]
	v_fma_f64 v[240:241], v[240:241], v[218:219], v[18:19]
	v_mul_f64 v[18:19], v[242:243], v[236:237]
	s_delay_alu instid0(VALU_DEP_3) | instskip(SKIP_1) | instid1(VALU_DEP_1)
	v_fma_f64 v[218:219], v[242:243], v[234:235], -v[2:3]
	v_add_co_u32 v2, s0, 0x3000, v208
	v_add_co_ci_u32_e64 v3, s0, 0, v209, s0
	s_delay_alu instid0(VALU_DEP_4)
	v_fma_f64 v[220:221], v[244:245], v[234:235], v[18:19]
	ds_load_b128 v[242:245], v8 offset:12880
	global_load_b128 v[234:237], v[2:3], off offset:592
	s_waitcnt vmcnt(0) lgkmcnt(0)
	v_mul_f64 v[2:3], v[244:245], v[236:237]
	v_mul_f64 v[18:19], v[242:243], v[236:237]
	s_delay_alu instid0(VALU_DEP_2) | instskip(NEXT) | instid1(VALU_DEP_2)
	v_fma_f64 v[242:243], v[242:243], v[234:235], -v[2:3]
	v_fma_f64 v[244:245], v[244:245], v[234:235], v[18:19]
	ds_store_b128 v8, v[4:7] offset:880
	ds_store_b128 v8, v[226:229] offset:2080
	;; [unrolled: 1-line block ×11, first 2 shown]
.LBB0_9:
	s_or_b32 exec_lo, exec_lo, s1
	s_waitcnt lgkmcnt(0)
	s_waitcnt_vscnt null, 0x0
	s_barrier
	buffer_gl0_inv
	ds_load_b128 v[208:211], v8
	ds_load_b128 v[212:215], v8 offset:1200
	ds_load_b128 v[216:219], v8 offset:2400
	;; [unrolled: 1-line block ×10, first 2 shown]
	s_and_saveexec_b32 s0, vcc_lo
	s_cbranch_execz .LBB0_11
; %bb.10:
	ds_load_b128 v[192:195], v8 offset:880
	ds_load_b128 v[196:199], v8 offset:2080
	;; [unrolled: 1-line block ×5, first 2 shown]
	s_waitcnt lgkmcnt(0)
	scratch_store_b128 off, v[2:5], off offset:52 ; 16-byte Folded Spill
	ds_load_b128 v[88:91], v8 offset:6880
	ds_load_b128 v[2:5], v8 offset:8080
	s_waitcnt lgkmcnt(0)
	scratch_store_b128 off, v[2:5], off offset:84 ; 16-byte Folded Spill
	ds_load_b128 v[2:5], v8 offset:9280
	s_waitcnt lgkmcnt(0)
	scratch_store_b128 off, v[2:5], off offset:68 ; 16-byte Folded Spill
	;; [unrolled: 3-line block ×5, first 2 shown]
.LBB0_11:
	s_or_b32 exec_lo, exec_lo, s0
	s_waitcnt lgkmcnt(9)
	v_add_f64 v[2:3], v[208:209], v[212:213]
	v_add_f64 v[4:5], v[210:211], v[214:215]
	s_waitcnt lgkmcnt(0)
	v_add_f64 v[14:15], v[214:215], -v[222:223]
	s_mov_b32 s20, 0x8eee2c13
	s_mov_b32 s18, 0x43842ef
	;; [unrolled: 1-line block ×8, first 2 shown]
	v_add_f64 v[16:17], v[212:213], v[220:221]
	v_add_f64 v[18:19], v[214:215], v[222:223]
	v_add_f64 v[20:21], v[212:213], -v[220:221]
	s_mov_b32 s22, 0x8764f0ba
	s_mov_b32 s14, 0xd9c712b6
	;; [unrolled: 1-line block ×10, first 2 shown]
	v_add_f64 v[34:35], v[250:251], v[246:247]
	v_add_f64 v[36:37], v[250:251], -v[246:247]
	v_add_f64 v[42:43], v[230:231], v[234:235]
	s_mov_b32 s35, 0x3fefac9e
	s_mov_b32 s29, 0x3fd207e7
	;; [unrolled: 1-line block ×10, first 2 shown]
	v_add_f64 v[38:39], v[238:239], v[242:243]
	v_add_f64 v[2:3], v[2:3], v[216:217]
	;; [unrolled: 1-line block ×3, first 2 shown]
	v_mul_f64 v[22:23], v[14:15], s[18:19]
	v_mul_f64 v[24:25], v[14:15], s[16:17]
	v_add_f64 v[40:41], v[238:239], -v[242:243]
	s_waitcnt_vscnt null, 0x0
	s_barrier
	buffer_gl0_inv
	v_mul_f64 v[80:81], v[34:35], s[0:1]
	v_mul_f64 v[78:79], v[36:37], s[12:13]
	v_add_f64 v[2:3], v[2:3], v[228:229]
	v_add_f64 v[4:5], v[4:5], v[230:231]
	v_fma_f64 v[32:33], v[16:17], s[8:9], v[22:23]
	v_fma_f64 v[22:23], v[16:17], s[8:9], -v[22:23]
	s_delay_alu instid0(VALU_DEP_4) | instskip(NEXT) | instid1(VALU_DEP_4)
	v_add_f64 v[2:3], v[2:3], v[236:237]
	v_add_f64 v[6:7], v[4:5], v[238:239]
	;; [unrolled: 1-line block ×3, first 2 shown]
	v_add_f64 v[228:229], v[228:229], -v[232:233]
	v_add_f64 v[32:33], v[208:209], v[32:33]
	v_add_f64 v[22:23], v[208:209], v[22:23]
	;; [unrolled: 1-line block ×4, first 2 shown]
	v_add_f64 v[250:251], v[218:219], -v[226:227]
	v_add_f64 v[2:3], v[248:249], v[244:245]
	v_add_f64 v[248:249], v[248:249], -v[244:245]
	v_add_f64 v[4:5], v[4:5], v[244:245]
	v_add_f64 v[6:7], v[6:7], v[246:247]
	v_add_f64 v[246:247], v[230:231], -v[234:235]
	v_add_f64 v[230:231], v[216:217], v[224:225]
	v_add_f64 v[216:217], v[216:217], -v[224:225]
	;; [unrolled: 2-line block ×3, first 2 shown]
	v_add_f64 v[4:5], v[4:5], v[240:241]
	v_add_f64 v[6:7], v[6:7], v[242:243]
	s_delay_alu instid0(VALU_DEP_2) | instskip(NEXT) | instid1(VALU_DEP_2)
	v_add_f64 v[4:5], v[4:5], v[232:233]
	v_add_f64 v[6:7], v[6:7], v[234:235]
	;; [unrolled: 1-line block ×3, first 2 shown]
	v_fma_f64 v[218:219], v[16:17], s[2:3], v[24:25]
	v_fma_f64 v[24:25], v[16:17], s[2:3], -v[24:25]
	v_add_f64 v[4:5], v[4:5], v[224:225]
	v_add_f64 v[6:7], v[6:7], v[226:227]
	v_mul_f64 v[224:225], v[18:19], s[2:3]
	v_add_f64 v[64:65], v[208:209], v[218:219]
	v_mul_f64 v[218:219], v[250:251], s[20:21]
	;; [unrolled: 2-line block ×3, first 2 shown]
	v_add_f64 v[212:213], v[4:5], v[220:221]
	v_add_f64 v[214:215], v[6:7], v[222:223]
	v_mul_f64 v[4:5], v[14:15], s[24:25]
	v_mul_f64 v[6:7], v[14:15], s[20:21]
	;; [unrolled: 1-line block ×4, first 2 shown]
	v_fma_f64 v[242:243], v[20:21], s[36:37], v[224:225]
	v_fma_f64 v[224:225], v[20:21], s[16:17], v[224:225]
	;; [unrolled: 1-line block ×3, first 2 shown]
	v_fma_f64 v[4:5], v[16:17], s[22:23], -v[4:5]
	v_fma_f64 v[28:29], v[16:17], s[14:15], v[6:7]
	v_fma_f64 v[30:31], v[16:17], s[14:15], -v[6:7]
	v_fma_f64 v[220:221], v[16:17], s[0:1], v[14:15]
	v_fma_f64 v[14:15], v[16:17], s[0:1], -v[14:15]
	v_mul_f64 v[6:7], v[18:19], s[22:23]
	v_mul_f64 v[16:17], v[18:19], s[14:15]
	;; [unrolled: 1-line block ×3, first 2 shown]
	v_fma_f64 v[240:241], v[20:21], s[34:35], v[222:223]
	v_fma_f64 v[222:223], v[20:21], s[18:19], v[222:223]
	v_add_f64 v[70:71], v[210:211], v[224:225]
	v_mul_f64 v[224:225], v[42:43], s[8:9]
	v_add_f64 v[66:67], v[210:211], v[242:243]
	v_add_f64 v[4:5], v[208:209], v[4:5]
	;; [unrolled: 1-line block ×5, first 2 shown]
	v_mul_f64 v[220:221], v[234:235], s[14:15]
	v_fma_f64 v[226:227], v[20:21], s[30:31], v[6:7]
	v_fma_f64 v[6:7], v[20:21], s[24:25], v[6:7]
	;; [unrolled: 1-line block ×6, first 2 shown]
	v_add_f64 v[20:21], v[208:209], v[26:27]
	v_add_f64 v[12:13], v[210:211], v[222:223]
	v_mul_f64 v[222:223], v[246:247], s[18:19]
	v_add_f64 v[240:241], v[210:211], v[240:241]
	v_add_f64 v[26:27], v[210:211], v[226:227]
	v_mul_f64 v[226:227], v[40:41], s[16:17]
	v_add_f64 v[74:75], v[210:211], v[252:253]
	v_add_f64 v[252:253], v[208:209], v[14:15]
	v_fma_f64 v[14:15], v[230:231], s[14:15], v[218:219]
	v_add_f64 v[9:10], v[210:211], v[16:17]
	v_add_f64 v[76:77], v[210:211], v[18:19]
	v_fma_f64 v[16:17], v[216:217], s[26:27], v[220:221]
	v_fma_f64 v[18:19], v[238:239], s[8:9], v[222:223]
	v_add_f64 v[254:255], v[210:211], v[232:233]
	v_mul_f64 v[232:233], v[38:39], s[2:3]
	v_add_f64 v[6:7], v[210:211], v[6:7]
	v_add_f64 v[14:15], v[14:15], v[20:21]
	v_mul_f64 v[20:21], v[234:235], s[2:3]
	v_add_f64 v[16:17], v[16:17], v[26:27]
	v_fma_f64 v[26:27], v[238:239], s[0:1], v[24:25]
	s_delay_alu instid0(VALU_DEP_4) | instskip(SKIP_1) | instid1(VALU_DEP_1)
	v_add_f64 v[14:15], v[18:19], v[14:15]
	v_fma_f64 v[18:19], v[228:229], s[34:35], v[224:225]
	v_add_f64 v[16:17], v[18:19], v[16:17]
	v_fma_f64 v[18:19], v[244:245], s[2:3], v[226:227]
	s_delay_alu instid0(VALU_DEP_1) | instskip(SKIP_1) | instid1(VALU_DEP_1)
	v_add_f64 v[14:15], v[18:19], v[14:15]
	v_fma_f64 v[18:19], v[236:237], s[36:37], v[232:233]
	v_add_f64 v[16:17], v[18:19], v[16:17]
	v_fma_f64 v[18:19], v[2:3], s[0:1], v[78:79]
	s_delay_alu instid0(VALU_DEP_1) | instskip(SKIP_2) | instid1(VALU_DEP_2)
	v_add_f64 v[208:209], v[18:19], v[14:15]
	v_fma_f64 v[14:15], v[248:249], s[28:29], v[80:81]
	v_mul_f64 v[18:19], v[250:251], s[16:17]
	v_add_f64 v[210:211], v[14:15], v[16:17]
	s_delay_alu instid0(VALU_DEP_2) | instskip(SKIP_3) | instid1(VALU_DEP_4)
	v_fma_f64 v[14:15], v[230:231], s[2:3], v[18:19]
	v_fma_f64 v[16:17], v[216:217], s[36:37], v[20:21]
	v_fma_f64 v[18:19], v[230:231], s[2:3], -v[18:19]
	v_fma_f64 v[20:21], v[216:217], s[16:17], v[20:21]
	v_add_f64 v[14:15], v[14:15], v[28:29]
	s_delay_alu instid0(VALU_DEP_4) | instskip(NEXT) | instid1(VALU_DEP_4)
	v_add_f64 v[16:17], v[16:17], v[254:255]
	v_add_f64 v[18:19], v[18:19], v[30:31]
	s_delay_alu instid0(VALU_DEP_4) | instskip(SKIP_4) | instid1(VALU_DEP_4)
	v_add_f64 v[9:10], v[20:21], v[9:10]
	v_fma_f64 v[20:21], v[238:239], s[0:1], -v[24:25]
	v_mul_f64 v[30:31], v[246:247], s[26:27]
	v_add_f64 v[14:15], v[26:27], v[14:15]
	v_mul_f64 v[26:27], v[42:43], s[0:1]
	v_add_f64 v[18:19], v[20:21], v[18:19]
	s_delay_alu instid0(VALU_DEP_2) | instskip(SKIP_2) | instid1(VALU_DEP_3)
	v_fma_f64 v[28:29], v[228:229], s[12:13], v[26:27]
	v_fma_f64 v[20:21], v[228:229], s[28:29], v[26:27]
	v_mul_f64 v[26:27], v[234:235], s[0:1]
	v_add_f64 v[16:17], v[28:29], v[16:17]
	v_mul_f64 v[28:29], v[40:41], s[34:35]
	s_delay_alu instid0(VALU_DEP_4) | instskip(NEXT) | instid1(VALU_DEP_2)
	v_add_f64 v[9:10], v[20:21], v[9:10]
	v_fma_f64 v[82:83], v[244:245], s[8:9], v[28:29]
	v_fma_f64 v[20:21], v[244:245], s[8:9], -v[28:29]
	v_fma_f64 v[28:29], v[216:217], s[12:13], v[26:27]
	s_delay_alu instid0(VALU_DEP_3) | instskip(SKIP_1) | instid1(VALU_DEP_4)
	v_add_f64 v[14:15], v[82:83], v[14:15]
	v_mul_f64 v[82:83], v[38:39], s[8:9]
	v_add_f64 v[18:19], v[20:21], v[18:19]
	s_delay_alu instid0(VALU_DEP_4) | instskip(NEXT) | instid1(VALU_DEP_3)
	v_add_f64 v[28:29], v[28:29], v[240:241]
	v_fma_f64 v[242:243], v[236:237], s[18:19], v[82:83]
	v_fma_f64 v[20:21], v[236:237], s[34:35], v[82:83]
	s_delay_alu instid0(VALU_DEP_2) | instskip(SKIP_1) | instid1(VALU_DEP_3)
	v_add_f64 v[16:17], v[242:243], v[16:17]
	v_mul_f64 v[242:243], v[36:37], s[30:31]
	v_add_f64 v[9:10], v[20:21], v[9:10]
	s_delay_alu instid0(VALU_DEP_2) | instskip(SKIP_1) | instid1(VALU_DEP_2)
	v_fma_f64 v[254:255], v[2:3], s[22:23], v[242:243]
	v_fma_f64 v[20:21], v[2:3], s[22:23], -v[242:243]
	v_add_f64 v[14:15], v[254:255], v[14:15]
	v_mul_f64 v[254:255], v[34:35], s[22:23]
	s_delay_alu instid0(VALU_DEP_3) | instskip(NEXT) | instid1(VALU_DEP_2)
	v_add_f64 v[18:19], v[20:21], v[18:19]
	v_fma_f64 v[24:25], v[248:249], s[30:31], v[254:255]
	v_fma_f64 v[84:85], v[248:249], s[24:25], v[254:255]
	s_delay_alu instid0(VALU_DEP_2) | instskip(SKIP_1) | instid1(VALU_DEP_3)
	v_add_f64 v[20:21], v[24:25], v[9:10]
	v_mul_f64 v[9:10], v[250:251], s[28:29]
	v_add_f64 v[16:17], v[84:85], v[16:17]
	s_delay_alu instid0(VALU_DEP_2) | instskip(SKIP_1) | instid1(VALU_DEP_2)
	v_fma_f64 v[24:25], v[230:231], s[0:1], v[9:10]
	v_fma_f64 v[9:10], v[230:231], s[0:1], -v[9:10]
	v_add_f64 v[24:25], v[24:25], v[32:33]
	v_fma_f64 v[32:33], v[238:239], s[14:15], v[30:31]
	s_delay_alu instid0(VALU_DEP_3) | instskip(SKIP_1) | instid1(VALU_DEP_3)
	v_add_f64 v[9:10], v[9:10], v[22:23]
	v_fma_f64 v[22:23], v[216:217], s[28:29], v[26:27]
	v_add_f64 v[24:25], v[32:33], v[24:25]
	v_mul_f64 v[32:33], v[42:43], s[14:15]
	s_delay_alu instid0(VALU_DEP_3) | instskip(SKIP_2) | instid1(VALU_DEP_4)
	v_add_f64 v[12:13], v[22:23], v[12:13]
	v_fma_f64 v[22:23], v[238:239], s[14:15], -v[30:31]
	v_mul_f64 v[30:31], v[234:235], s[8:9]
	v_fma_f64 v[82:83], v[228:229], s[20:21], v[32:33]
	s_delay_alu instid0(VALU_DEP_3)
	v_add_f64 v[9:10], v[22:23], v[9:10]
	v_fma_f64 v[22:23], v[228:229], s[26:27], v[32:33]
	v_mul_f64 v[32:33], v[246:247], s[24:25]
	v_fma_f64 v[26:27], v[216:217], s[18:19], v[30:31]
	v_fma_f64 v[30:31], v[216:217], s[34:35], v[30:31]
	v_add_f64 v[28:29], v[82:83], v[28:29]
	v_mul_f64 v[82:83], v[40:41], s[24:25]
	v_add_f64 v[12:13], v[22:23], v[12:13]
	v_add_f64 v[26:27], v[26:27], v[66:67]
	v_mul_f64 v[66:67], v[40:41], s[12:13]
	v_add_f64 v[30:31], v[30:31], v[70:71]
	v_mul_f64 v[40:41], v[40:41], s[26:27]
	v_fma_f64 v[84:85], v[244:245], s[22:23], v[82:83]
	v_fma_f64 v[22:23], v[244:245], s[22:23], -v[82:83]
	v_mul_f64 v[82:83], v[38:39], s[0:1]
	s_delay_alu instid0(VALU_DEP_3) | instskip(SKIP_1) | instid1(VALU_DEP_4)
	v_add_f64 v[24:25], v[84:85], v[24:25]
	v_mul_f64 v[84:85], v[38:39], s[22:23]
	v_add_f64 v[9:10], v[22:23], v[9:10]
	v_mul_f64 v[38:39], v[38:39], s[14:15]
	s_delay_alu instid0(VALU_DEP_3) | instskip(SKIP_2) | instid1(VALU_DEP_3)
	v_fma_f64 v[86:87], v[236:237], s[30:31], v[84:85]
	v_fma_f64 v[22:23], v[236:237], s[24:25], v[84:85]
	v_mul_f64 v[84:85], v[36:37], s[26:27]
	v_add_f64 v[28:29], v[86:87], v[28:29]
	v_mul_f64 v[86:87], v[36:37], s[16:17]
	s_delay_alu instid0(VALU_DEP_4) | instskip(NEXT) | instid1(VALU_DEP_2)
	v_add_f64 v[12:13], v[22:23], v[12:13]
	v_fma_f64 v[240:241], v[2:3], s[2:3], v[86:87]
	v_fma_f64 v[22:23], v[2:3], s[2:3], -v[86:87]
	s_delay_alu instid0(VALU_DEP_2) | instskip(SKIP_1) | instid1(VALU_DEP_3)
	v_add_f64 v[240:241], v[240:241], v[24:25]
	v_mul_f64 v[24:25], v[34:35], s[2:3]
	v_add_f64 v[22:23], v[22:23], v[9:10]
	v_mul_f64 v[9:10], v[250:251], s[34:35]
	s_delay_alu instid0(VALU_DEP_3) | instskip(SKIP_1) | instid1(VALU_DEP_2)
	v_fma_f64 v[242:243], v[248:249], s[36:37], v[24:25]
	v_fma_f64 v[24:25], v[248:249], s[16:17], v[24:25]
	v_add_f64 v[242:243], v[242:243], v[28:29]
	s_delay_alu instid0(VALU_DEP_2) | instskip(SKIP_4) | instid1(VALU_DEP_4)
	v_add_f64 v[24:25], v[24:25], v[12:13]
	v_fma_f64 v[12:13], v[230:231], s[8:9], v[9:10]
	v_fma_f64 v[28:29], v[238:239], s[22:23], v[32:33]
	v_fma_f64 v[9:10], v[230:231], s[8:9], -v[9:10]
	v_fma_f64 v[32:33], v[238:239], s[22:23], -v[32:33]
	v_add_f64 v[12:13], v[12:13], v[64:65]
	v_mul_f64 v[64:65], v[42:43], s[22:23]
	s_delay_alu instid0(VALU_DEP_4)
	v_add_f64 v[9:10], v[9:10], v[68:69]
	v_mul_f64 v[68:69], v[246:247], s[16:17]
	v_mul_f64 v[42:43], v[42:43], s[2:3]
	v_add_f64 v[12:13], v[28:29], v[12:13]
	v_fma_f64 v[28:29], v[228:229], s[30:31], v[64:65]
	v_add_f64 v[9:10], v[32:33], v[9:10]
	v_fma_f64 v[32:33], v[228:229], s[24:25], v[64:65]
	v_mul_f64 v[64:65], v[234:235], s[22:23]
	v_fma_f64 v[70:71], v[238:239], s[2:3], v[68:69]
	v_add_f64 v[26:27], v[28:29], v[26:27]
	v_fma_f64 v[28:29], v[244:245], s[0:1], v[66:67]
	v_add_f64 v[30:31], v[32:33], v[30:31]
	v_fma_f64 v[32:33], v[244:245], s[0:1], -v[66:67]
	v_fma_f64 v[66:67], v[216:217], s[24:25], v[64:65]
	s_delay_alu instid0(VALU_DEP_4) | instskip(SKIP_1) | instid1(VALU_DEP_4)
	v_add_f64 v[12:13], v[28:29], v[12:13]
	v_fma_f64 v[28:29], v[236:237], s[28:29], v[82:83]
	v_add_f64 v[9:10], v[32:33], v[9:10]
	v_fma_f64 v[32:33], v[236:237], s[12:13], v[82:83]
	v_add_f64 v[66:67], v[66:67], v[74:75]
	s_delay_alu instid0(VALU_DEP_4) | instskip(SKIP_1) | instid1(VALU_DEP_4)
	v_add_f64 v[28:29], v[28:29], v[26:27]
	v_fma_f64 v[26:27], v[2:3], s[14:15], v[84:85]
	v_add_f64 v[32:33], v[32:33], v[30:31]
	v_fma_f64 v[30:31], v[2:3], s[14:15], -v[84:85]
	s_delay_alu instid0(VALU_DEP_3) | instskip(SKIP_1) | instid1(VALU_DEP_3)
	v_add_f64 v[26:27], v[26:27], v[12:13]
	v_mul_f64 v[12:13], v[34:35], s[14:15]
	v_add_f64 v[30:31], v[30:31], v[9:10]
	v_mul_f64 v[9:10], v[250:251], s[30:31]
	s_delay_alu instid0(VALU_DEP_3) | instskip(SKIP_1) | instid1(VALU_DEP_2)
	v_fma_f64 v[86:87], v[248:249], s[20:21], v[12:13]
	v_fma_f64 v[12:13], v[248:249], s[26:27], v[12:13]
	v_add_f64 v[28:29], v[86:87], v[28:29]
	s_delay_alu instid0(VALU_DEP_2) | instskip(SKIP_2) | instid1(VALU_DEP_2)
	v_add_f64 v[32:33], v[12:13], v[32:33]
	v_fma_f64 v[12:13], v[230:231], s[22:23], v[9:10]
	v_fma_f64 v[9:10], v[230:231], s[22:23], -v[9:10]
	v_add_f64 v[12:13], v[12:13], v[72:73]
	v_mul_f64 v[72:73], v[34:35], s[8:9]
	s_delay_alu instid0(VALU_DEP_3) | instskip(NEXT) | instid1(VALU_DEP_3)
	v_add_f64 v[9:10], v[9:10], v[252:253]
	v_add_f64 v[12:13], v[70:71], v[12:13]
	v_fma_f64 v[70:71], v[228:229], s[36:37], v[42:43]
	v_fma_f64 v[42:43], v[228:229], s[16:17], v[42:43]
	s_delay_alu instid0(VALU_DEP_2) | instskip(SKIP_2) | instid1(VALU_DEP_2)
	v_add_f64 v[66:67], v[70:71], v[66:67]
	v_fma_f64 v[70:71], v[244:245], s[14:15], v[40:41]
	v_fma_f64 v[40:41], v[244:245], s[14:15], -v[40:41]
	v_add_f64 v[12:13], v[70:71], v[12:13]
	v_fma_f64 v[70:71], v[236:237], s[20:21], v[38:39]
	v_fma_f64 v[38:39], v[236:237], s[26:27], v[38:39]
	s_delay_alu instid0(VALU_DEP_2) | instskip(SKIP_1) | instid1(VALU_DEP_1)
	v_add_f64 v[66:67], v[70:71], v[66:67]
	v_mul_f64 v[70:71], v[36:37], s[18:19]
	v_fma_f64 v[34:35], v[2:3], s[8:9], v[70:71]
	s_delay_alu instid0(VALU_DEP_1) | instskip(SKIP_1) | instid1(VALU_DEP_1)
	v_add_f64 v[34:35], v[34:35], v[12:13]
	v_fma_f64 v[12:13], v[248:249], s[34:35], v[72:73]
	v_add_f64 v[36:37], v[12:13], v[66:67]
	v_fma_f64 v[12:13], v[216:217], s[30:31], v[64:65]
	v_fma_f64 v[64:65], v[238:239], s[2:3], -v[68:69]
	s_delay_alu instid0(VALU_DEP_2) | instskip(NEXT) | instid1(VALU_DEP_2)
	v_add_f64 v[12:13], v[12:13], v[76:77]
	v_add_f64 v[9:10], v[64:65], v[9:10]
	v_fma_f64 v[64:65], v[228:229], s[18:19], v[224:225]
	s_delay_alu instid0(VALU_DEP_3) | instskip(NEXT) | instid1(VALU_DEP_3)
	v_add_f64 v[12:13], v[42:43], v[12:13]
	v_add_f64 v[9:10], v[40:41], v[9:10]
	v_fma_f64 v[40:41], v[248:249], s[18:19], v[72:73]
	v_fma_f64 v[42:43], v[238:239], s[8:9], -v[222:223]
	s_delay_alu instid0(VALU_DEP_4) | instskip(SKIP_2) | instid1(VALU_DEP_3)
	v_add_f64 v[12:13], v[38:39], v[12:13]
	v_fma_f64 v[38:39], v[2:3], s[8:9], -v[70:71]
	v_fma_f64 v[2:3], v[2:3], s[0:1], -v[78:79]
	v_add_f64 v[40:41], v[40:41], v[12:13]
	s_delay_alu instid0(VALU_DEP_3) | instskip(SKIP_2) | instid1(VALU_DEP_2)
	v_add_f64 v[38:39], v[38:39], v[9:10]
	v_fma_f64 v[9:10], v[230:231], s[14:15], -v[218:219]
	v_fma_f64 v[12:13], v[216:217], s[20:21], v[220:221]
	v_add_f64 v[4:5], v[9:10], v[4:5]
	s_delay_alu instid0(VALU_DEP_2) | instskip(SKIP_2) | instid1(VALU_DEP_4)
	v_add_f64 v[6:7], v[12:13], v[6:7]
	v_fma_f64 v[9:10], v[244:245], s[2:3], -v[226:227]
	v_fma_f64 v[12:13], v[236:237], s[16:17], v[232:233]
	v_add_f64 v[4:5], v[42:43], v[4:5]
	s_delay_alu instid0(VALU_DEP_4) | instskip(SKIP_1) | instid1(VALU_DEP_3)
	v_add_f64 v[6:7], v[64:65], v[6:7]
	v_fma_f64 v[42:43], v[248:249], s[12:13], v[80:81]
	v_add_f64 v[4:5], v[9:10], v[4:5]
	s_delay_alu instid0(VALU_DEP_3) | instskip(NEXT) | instid1(VALU_DEP_2)
	v_add_f64 v[6:7], v[12:13], v[6:7]
	v_add_f64 v[2:3], v[2:3], v[4:5]
	s_delay_alu instid0(VALU_DEP_2)
	v_add_f64 v[4:5], v[42:43], v[6:7]
	ds_store_b128 v11, v[14:17] offset:32
	ds_store_b128 v11, v[240:243] offset:48
	ds_store_b128 v11, v[26:29] offset:64
	ds_store_b128 v11, v[34:37] offset:80
	ds_store_b128 v11, v[38:41] offset:96
	ds_store_b128 v11, v[30:33] offset:112
	ds_store_b128 v11, v[22:25] offset:128
	ds_store_b128 v11, v[18:21] offset:144
	ds_store_b128 v11, v[208:211] offset:16
	ds_store_b128 v11, v[212:215]
	ds_store_b128 v11, v[2:5] offset:160
	s_and_saveexec_b32 s33, vcc_lo
	s_cbranch_execz .LBB0_13
; %bb.12:
	s_clause 0x1
	scratch_load_b128 v[13:16], off, off offset:52
	scratch_load_b128 v[17:20], off, off offset:84
	v_add_f64 v[2:3], v[194:195], v[198:199]
	v_add_f64 v[4:5], v[192:193], v[196:197]
	scratch_load_b128 v[23:26], off, off offset:4 ; 16-byte Folded Reload
	v_add_f64 v[2:3], v[2:3], v[202:203]
	v_add_f64 v[4:5], v[4:5], v[200:201]
	s_delay_alu instid0(VALU_DEP_2) | instskip(NEXT) | instid1(VALU_DEP_2)
	v_add_f64 v[2:3], v[2:3], v[206:207]
	v_add_f64 v[4:5], v[4:5], v[204:205]
	s_waitcnt vmcnt(2)
	s_delay_alu instid0(VALU_DEP_2) | instskip(NEXT) | instid1(VALU_DEP_2)
	v_add_f64 v[2:3], v[2:3], v[15:16]
	v_add_f64 v[4:5], v[4:5], v[13:14]
	s_waitcnt vmcnt(1)
	v_add_f64 v[6:7], v[88:89], -v[17:18]
	v_add_f64 v[9:10], v[90:91], -v[19:20]
	v_add_f64 v[11:12], v[90:91], v[19:20]
	v_add_f64 v[42:43], v[88:89], v[17:18]
	s_waitcnt vmcnt(0)
	v_add_f64 v[21:22], v[196:197], v[23:24]
	v_add_f64 v[2:3], v[2:3], v[90:91]
	;; [unrolled: 1-line block ×3, first 2 shown]
	v_mul_f64 v[216:217], v[6:7], s[18:19]
	v_mul_f64 v[218:219], v[9:10], s[18:19]
	;; [unrolled: 1-line block ×6, first 2 shown]
	v_add_f64 v[2:3], v[2:3], v[19:20]
	v_add_f64 v[4:5], v[4:5], v[17:18]
	scratch_load_b128 v[17:20], off, off offset:68 ; 16-byte Folded Reload
	s_waitcnt vmcnt(0)
	v_add_f64 v[68:69], v[13:14], -v[17:18]
	v_add_f64 v[70:71], v[15:16], -v[19:20]
	v_add_f64 v[72:73], v[15:16], v[19:20]
	v_add_f64 v[74:75], v[13:14], v[17:18]
	scratch_load_b128 v[13:16], off, off offset:36 ; 16-byte Folded Reload
	v_add_f64 v[2:3], v[2:3], v[19:20]
	v_add_f64 v[4:5], v[4:5], v[17:18]
	v_add_f64 v[17:18], v[198:199], -v[25:26]
	v_add_f64 v[19:20], v[198:199], v[25:26]
	s_delay_alu instid0(VALU_DEP_2) | instskip(SKIP_2) | instid1(VALU_DEP_3)
	v_mul_f64 v[39:40], v[17:18], s[16:17]
	v_mul_f64 v[64:65], v[17:18], s[18:19]
	v_mul_f64 v[66:67], v[17:18], s[20:21]
	v_fma_f64 v[198:199], v[21:22], s[2:3], -v[39:40]
	v_fma_f64 v[39:40], v[21:22], s[2:3], v[39:40]
	s_delay_alu instid0(VALU_DEP_2) | instskip(NEXT) | instid1(VALU_DEP_2)
	v_add_f64 v[198:199], v[192:193], v[198:199]
	v_add_f64 v[39:40], v[192:193], v[39:40]
	s_waitcnt vmcnt(0)
	v_add_f64 v[76:77], v[204:205], -v[13:14]
	v_add_f64 v[78:79], v[206:207], -v[15:16]
	v_add_f64 v[80:81], v[206:207], v[15:16]
	v_add_f64 v[82:83], v[204:205], v[13:14]
	;; [unrolled: 1-line block ×4, first 2 shown]
	scratch_load_b128 v[13:16], off, off offset:20 ; 16-byte Folded Reload
	s_waitcnt vmcnt(0)
	v_add_f64 v[84:85], v[200:201], -v[13:14]
	v_add_f64 v[86:87], v[202:203], -v[15:16]
	v_add_f64 v[88:89], v[202:203], v[15:16]
	v_add_f64 v[90:91], v[200:201], v[13:14]
	;; [unrolled: 1-line block ×4, first 2 shown]
	v_add_f64 v[15:16], v[196:197], -v[23:24]
	v_fma_f64 v[200:201], v[21:22], s[8:9], v[64:65]
	v_fma_f64 v[64:65], v[21:22], s[8:9], -v[64:65]
	v_fma_f64 v[202:203], v[21:22], s[14:15], v[66:67]
	v_fma_f64 v[66:67], v[21:22], s[14:15], -v[66:67]
	v_add_f64 v[4:5], v[2:3], v[25:26]
	v_add_f64 v[2:3], v[13:14], v[23:24]
	v_mul_f64 v[13:14], v[15:16], s[12:13]
	v_mul_f64 v[23:24], v[15:16], s[16:17]
	;; [unrolled: 1-line block ×5, first 2 shown]
	v_add_f64 v[200:201], v[192:193], v[200:201]
	v_add_f64 v[64:65], v[192:193], v[64:65]
	;; [unrolled: 1-line block ×3, first 2 shown]
	v_fma_f64 v[29:30], v[19:20], s[0:1], v[13:14]
	v_fma_f64 v[13:14], v[19:20], s[0:1], -v[13:14]
	v_fma_f64 v[31:32], v[19:20], s[2:3], v[23:24]
	v_fma_f64 v[23:24], v[19:20], s[2:3], -v[23:24]
	;; [unrolled: 2-line block ×3, first 2 shown]
	v_fma_f64 v[35:36], v[19:20], s[14:15], -v[27:28]
	v_fma_f64 v[27:28], v[19:20], s[14:15], v[27:28]
	v_fma_f64 v[37:38], v[19:20], s[22:23], v[15:16]
	v_fma_f64 v[15:16], v[19:20], s[22:23], -v[15:16]
	v_mul_f64 v[19:20], v[17:18], s[12:13]
	v_mul_f64 v[17:18], v[17:18], s[24:25]
	v_add_f64 v[31:32], v[194:195], v[31:32]
	v_add_f64 v[206:207], v[194:195], v[23:24]
	v_mul_f64 v[23:24], v[84:85], s[30:31]
	v_add_f64 v[210:211], v[194:195], v[25:26]
	v_mul_f64 v[25:26], v[76:77], s[16:17]
	v_add_f64 v[208:209], v[194:195], v[33:34]
	v_add_f64 v[33:34], v[194:195], v[35:36]
	;; [unrolled: 1-line block ×3, first 2 shown]
	v_fma_f64 v[196:197], v[21:22], s[0:1], -v[19:20]
	v_fma_f64 v[19:20], v[21:22], s[0:1], v[19:20]
	v_fma_f64 v[204:205], v[21:22], s[22:23], v[17:18]
	v_fma_f64 v[17:18], v[21:22], s[22:23], -v[17:18]
	v_add_f64 v[21:22], v[194:195], v[29:30]
	v_add_f64 v[202:203], v[194:195], v[27:28]
	;; [unrolled: 1-line block ×3, first 2 shown]
	v_mul_f64 v[27:28], v[78:79], s[16:17]
	v_mul_f64 v[37:38], v[70:71], s[26:27]
	v_add_f64 v[29:30], v[192:193], v[196:197]
	v_add_f64 v[196:197], v[194:195], v[13:14]
	v_fma_f64 v[13:14], v[88:89], s[22:23], v[23:24]
	v_add_f64 v[19:20], v[192:193], v[19:20]
	v_add_f64 v[194:195], v[194:195], v[15:16]
	;; [unrolled: 1-line block ×4, first 2 shown]
	v_fma_f64 v[17:18], v[80:81], s[2:3], v[25:26]
	v_fma_f64 v[23:24], v[88:89], s[22:23], -v[23:24]
	v_add_f64 v[13:14], v[13:14], v[21:22]
	v_mul_f64 v[21:22], v[86:87], s[30:31]
	s_delay_alu instid0(VALU_DEP_3) | instskip(NEXT) | instid1(VALU_DEP_3)
	v_add_f64 v[23:24], v[23:24], v[196:197]
	v_add_f64 v[13:14], v[17:18], v[13:14]
	s_delay_alu instid0(VALU_DEP_3) | instskip(SKIP_2) | instid1(VALU_DEP_3)
	v_fma_f64 v[15:16], v[90:91], s[22:23], -v[21:22]
	v_fma_f64 v[17:18], v[82:83], s[2:3], -v[27:28]
	v_fma_f64 v[21:22], v[90:91], s[22:23], v[21:22]
	v_add_f64 v[15:16], v[15:16], v[29:30]
	v_mul_f64 v[29:30], v[68:69], s[26:27]
	s_delay_alu instid0(VALU_DEP_2) | instskip(NEXT) | instid1(VALU_DEP_2)
	v_add_f64 v[15:16], v[17:18], v[15:16]
	v_fma_f64 v[17:18], v[72:73], s[14:15], v[29:30]
	s_delay_alu instid0(VALU_DEP_1) | instskip(SKIP_1) | instid1(VALU_DEP_1)
	v_add_f64 v[13:14], v[17:18], v[13:14]
	v_fma_f64 v[17:18], v[74:75], s[14:15], -v[37:38]
	v_add_f64 v[214:215], v[17:18], v[15:16]
	v_add_f64 v[18:19], v[21:22], v[19:20]
	v_fma_f64 v[20:21], v[80:81], s[2:3], -v[25:26]
	v_fma_f64 v[15:16], v[11:12], s[8:9], v[216:217]
	s_delay_alu instid0(VALU_DEP_2)
	v_add_f64 v[20:21], v[20:21], v[23:24]
	v_fma_f64 v[22:23], v[82:83], s[2:3], v[27:28]
	v_mul_f64 v[26:27], v[84:85], s[34:35]
	v_fma_f64 v[24:25], v[42:43], s[8:9], v[218:219]
	v_add_f64 v[16:17], v[15:16], v[13:14]
	v_fma_f64 v[13:14], v[42:43], s[8:9], -v[218:219]
	v_mul_f64 v[218:219], v[9:10], s[26:27]
	v_mul_f64 v[9:10], v[9:10], s[12:13]
	v_add_f64 v[18:19], v[22:23], v[18:19]
	v_fma_f64 v[22:23], v[72:73], s[14:15], -v[29:30]
	v_mul_f64 v[28:29], v[86:87], s[34:35]
	v_add_f64 v[14:15], v[13:14], v[214:215]
	s_delay_alu instid0(VALU_DEP_3) | instskip(SKIP_1) | instid1(VALU_DEP_1)
	v_add_f64 v[20:21], v[22:23], v[20:21]
	v_fma_f64 v[22:23], v[74:75], s[14:15], v[37:38]
	v_add_f64 v[18:19], v[22:23], v[18:19]
	v_fma_f64 v[22:23], v[11:12], s[8:9], -v[216:217]
	v_mul_f64 v[216:217], v[6:7], s[26:27]
	v_mul_f64 v[6:7], v[6:7], s[12:13]
	s_delay_alu instid0(VALU_DEP_4) | instskip(NEXT) | instid1(VALU_DEP_4)
	v_add_f64 v[18:19], v[24:25], v[18:19]
	v_add_f64 v[20:21], v[22:23], v[20:21]
	v_fma_f64 v[22:23], v[88:89], s[8:9], v[26:27]
	v_fma_f64 v[24:25], v[90:91], s[8:9], -v[28:29]
	v_fma_f64 v[26:27], v[88:89], s[8:9], -v[26:27]
	v_fma_f64 v[28:29], v[90:91], s[8:9], v[28:29]
	s_delay_alu instid0(VALU_DEP_4)
	v_add_f64 v[22:23], v[22:23], v[31:32]
	v_mul_f64 v[30:31], v[76:77], s[24:25]
	v_add_f64 v[24:25], v[24:25], v[198:199]
	v_add_f64 v[26:27], v[26:27], v[206:207]
	;; [unrolled: 1-line block ×3, first 2 shown]
	v_mul_f64 v[206:207], v[76:77], s[28:29]
	v_mul_f64 v[40:41], v[86:87], s[28:29]
	v_fma_f64 v[37:38], v[80:81], s[22:23], v[30:31]
	v_fma_f64 v[30:31], v[80:81], s[22:23], -v[30:31]
	s_delay_alu instid0(VALU_DEP_2) | instskip(SKIP_1) | instid1(VALU_DEP_3)
	v_add_f64 v[22:23], v[37:38], v[22:23]
	v_mul_f64 v[37:38], v[78:79], s[24:25]
	v_add_f64 v[26:27], v[30:31], v[26:27]
	s_delay_alu instid0(VALU_DEP_2) | instskip(SKIP_2) | instid1(VALU_DEP_3)
	v_fma_f64 v[196:197], v[82:83], s[22:23], -v[37:38]
	v_fma_f64 v[30:31], v[82:83], s[22:23], v[37:38]
	v_fma_f64 v[37:38], v[42:43], s[14:15], v[218:219]
	v_add_f64 v[24:25], v[196:197], v[24:25]
	v_mul_f64 v[196:197], v[68:69], s[12:13]
	s_delay_alu instid0(VALU_DEP_4) | instskip(NEXT) | instid1(VALU_DEP_2)
	v_add_f64 v[28:29], v[30:31], v[28:29]
	v_fma_f64 v[198:199], v[72:73], s[0:1], v[196:197]
	v_fma_f64 v[30:31], v[72:73], s[0:1], -v[196:197]
	v_mul_f64 v[196:197], v[84:85], s[16:17]
	s_delay_alu instid0(VALU_DEP_3) | instskip(SKIP_1) | instid1(VALU_DEP_4)
	v_add_f64 v[22:23], v[198:199], v[22:23]
	v_mul_f64 v[198:199], v[70:71], s[12:13]
	v_add_f64 v[26:27], v[30:31], v[26:27]
	s_delay_alu instid0(VALU_DEP_2) | instskip(SKIP_3) | instid1(VALU_DEP_4)
	v_fma_f64 v[30:31], v[74:75], s[0:1], v[198:199]
	v_fma_f64 v[214:215], v[74:75], s[0:1], -v[198:199]
	v_mul_f64 v[198:199], v[86:87], s[16:17]
	v_mul_f64 v[86:87], v[86:87], s[20:21]
	v_add_f64 v[30:31], v[30:31], v[28:29]
	v_fma_f64 v[28:29], v[11:12], s[14:15], -v[216:217]
	v_add_f64 v[214:215], v[214:215], v[24:25]
	v_fma_f64 v[24:25], v[11:12], s[14:15], v[216:217]
	v_mul_f64 v[216:217], v[68:69], s[34:35]
	s_delay_alu instid0(VALU_DEP_4)
	v_add_f64 v[28:29], v[28:29], v[26:27]
	v_add_f64 v[26:27], v[37:38], v[30:31]
	v_fma_f64 v[30:31], v[88:89], s[2:3], -v[196:197]
	v_add_f64 v[24:25], v[24:25], v[22:23]
	v_fma_f64 v[22:23], v[42:43], s[14:15], -v[218:219]
	v_mul_f64 v[218:219], v[70:71], s[34:35]
	v_mul_f64 v[38:39], v[84:85], s[28:29]
	;; [unrolled: 1-line block ×3, first 2 shown]
	v_add_f64 v[30:31], v[30:31], v[33:34]
	v_fma_f64 v[32:33], v[90:91], s[2:3], v[198:199]
	v_add_f64 v[22:23], v[22:23], v[214:215]
	v_mul_f64 v[214:215], v[78:79], s[28:29]
	s_delay_alu instid0(VALU_DEP_3) | instskip(SKIP_3) | instid1(VALU_DEP_3)
	v_add_f64 v[32:33], v[32:33], v[35:36]
	v_fma_f64 v[34:35], v[80:81], s[0:1], -v[206:207]
	v_fma_f64 v[36:37], v[90:91], s[0:1], v[40:41]
	v_fma_f64 v[40:41], v[90:91], s[0:1], -v[40:41]
	v_add_f64 v[30:31], v[34:35], v[30:31]
	v_fma_f64 v[34:35], v[82:83], s[0:1], v[214:215]
	s_delay_alu instid0(VALU_DEP_4)
	v_add_f64 v[36:37], v[36:37], v[200:201]
	v_mul_f64 v[200:201], v[76:77], s[26:27]
	v_add_f64 v[40:41], v[40:41], v[64:65]
	v_mul_f64 v[76:77], v[76:77], s[18:19]
	v_add_f64 v[32:33], v[34:35], v[32:33]
	v_fma_f64 v[34:35], v[72:73], s[8:9], -v[216:217]
	v_fma_f64 v[64:65], v[80:81], s[14:15], v[200:201]
	s_delay_alu instid0(VALU_DEP_2) | instskip(SKIP_1) | instid1(VALU_DEP_1)
	v_add_f64 v[30:31], v[34:35], v[30:31]
	v_fma_f64 v[34:35], v[74:75], s[8:9], v[218:219]
	v_add_f64 v[34:35], v[34:35], v[32:33]
	v_fma_f64 v[32:33], v[11:12], s[22:23], -v[220:221]
	s_delay_alu instid0(VALU_DEP_1) | instskip(SKIP_1) | instid1(VALU_DEP_1)
	v_add_f64 v[32:33], v[32:33], v[30:31]
	v_fma_f64 v[30:31], v[42:43], s[22:23], v[222:223]
	v_add_f64 v[30:31], v[30:31], v[34:35]
	v_fma_f64 v[34:35], v[88:89], s[0:1], -v[38:39]
	v_fma_f64 v[38:39], v[88:89], s[0:1], v[38:39]
	s_delay_alu instid0(VALU_DEP_2) | instskip(SKIP_1) | instid1(VALU_DEP_3)
	v_add_f64 v[34:35], v[34:35], v[210:211]
	v_fma_f64 v[210:211], v[80:81], s[14:15], -v[200:201]
	v_add_f64 v[38:39], v[38:39], v[208:209]
	v_fma_f64 v[200:201], v[42:43], s[2:3], -v[232:233]
	s_delay_alu instid0(VALU_DEP_3) | instskip(SKIP_1) | instid1(VALU_DEP_4)
	v_add_f64 v[34:35], v[210:211], v[34:35]
	v_mul_f64 v[210:211], v[78:79], s[26:27]
	v_add_f64 v[38:39], v[64:65], v[38:39]
	v_mul_f64 v[78:79], v[78:79], s[18:19]
	s_delay_alu instid0(VALU_DEP_3) | instskip(SKIP_1) | instid1(VALU_DEP_2)
	v_fma_f64 v[224:225], v[82:83], s[14:15], v[210:211]
	v_fma_f64 v[64:65], v[82:83], s[14:15], -v[210:211]
	v_add_f64 v[36:37], v[224:225], v[36:37]
	v_mul_f64 v[224:225], v[68:69], s[24:25]
	s_delay_alu instid0(VALU_DEP_3) | instskip(NEXT) | instid1(VALU_DEP_2)
	v_add_f64 v[40:41], v[64:65], v[40:41]
	v_fma_f64 v[226:227], v[72:73], s[22:23], -v[224:225]
	v_fma_f64 v[64:65], v[72:73], s[22:23], v[224:225]
	s_delay_alu instid0(VALU_DEP_2) | instskip(SKIP_1) | instid1(VALU_DEP_3)
	v_add_f64 v[34:35], v[226:227], v[34:35]
	v_mul_f64 v[226:227], v[70:71], s[24:25]
	v_add_f64 v[38:39], v[64:65], v[38:39]
	s_delay_alu instid0(VALU_DEP_2) | instskip(SKIP_1) | instid1(VALU_DEP_2)
	v_fma_f64 v[64:65], v[74:75], s[22:23], -v[226:227]
	v_fma_f64 v[228:229], v[74:75], s[22:23], v[226:227]
	v_add_f64 v[64:65], v[64:65], v[40:41]
	v_fma_f64 v[40:41], v[11:12], s[2:3], v[230:231]
	s_delay_alu instid0(VALU_DEP_3) | instskip(SKIP_1) | instid1(VALU_DEP_3)
	v_add_f64 v[228:229], v[228:229], v[36:37]
	v_fma_f64 v[36:37], v[11:12], s[2:3], -v[230:231]
	v_add_f64 v[40:41], v[40:41], v[38:39]
	v_add_f64 v[38:39], v[200:201], v[64:65]
	v_fma_f64 v[64:65], v[88:89], s[2:3], v[196:197]
	v_fma_f64 v[196:197], v[90:91], s[2:3], -v[198:199]
	v_fma_f64 v[198:199], v[42:43], s[22:23], -v[222:223]
	v_add_f64 v[36:37], v[36:37], v[34:35]
	v_fma_f64 v[34:35], v[42:43], s[2:3], v[232:233]
	v_add_f64 v[64:65], v[64:65], v[202:203]
	v_add_f64 v[66:67], v[196:197], v[66:67]
	v_fma_f64 v[196:197], v[80:81], s[0:1], v[206:207]
	s_delay_alu instid0(VALU_DEP_4) | instskip(NEXT) | instid1(VALU_DEP_2)
	v_add_f64 v[34:35], v[34:35], v[228:229]
	v_add_f64 v[64:65], v[196:197], v[64:65]
	v_fma_f64 v[196:197], v[82:83], s[0:1], -v[214:215]
	s_delay_alu instid0(VALU_DEP_1) | instskip(SKIP_1) | instid1(VALU_DEP_1)
	v_add_f64 v[66:67], v[196:197], v[66:67]
	v_fma_f64 v[196:197], v[72:73], s[8:9], v[216:217]
	v_add_f64 v[64:65], v[196:197], v[64:65]
	v_fma_f64 v[196:197], v[74:75], s[8:9], -v[218:219]
	s_delay_alu instid0(VALU_DEP_1) | instskip(SKIP_1) | instid1(VALU_DEP_1)
	v_add_f64 v[196:197], v[196:197], v[66:67]
	v_fma_f64 v[66:67], v[11:12], s[22:23], v[220:221]
	v_add_f64 v[66:67], v[66:67], v[64:65]
	s_delay_alu instid0(VALU_DEP_3) | instskip(SKIP_4) | instid1(VALU_DEP_4)
	v_add_f64 v[64:65], v[198:199], v[196:197]
	v_fma_f64 v[196:197], v[88:89], s[14:15], -v[84:85]
	v_fma_f64 v[198:199], v[80:81], s[8:9], -v[76:77]
	v_fma_f64 v[84:85], v[88:89], s[14:15], v[84:85]
	v_fma_f64 v[76:77], v[80:81], s[8:9], v[76:77]
	v_add_f64 v[194:195], v[196:197], v[194:195]
	v_fma_f64 v[196:197], v[90:91], s[14:15], v[86:87]
	v_fma_f64 v[86:87], v[90:91], s[14:15], -v[86:87]
	v_add_f64 v[80:81], v[84:85], v[212:213]
	s_delay_alu instid0(VALU_DEP_4) | instskip(NEXT) | instid1(VALU_DEP_4)
	v_add_f64 v[194:195], v[198:199], v[194:195]
	v_add_f64 v[196:197], v[196:197], v[204:205]
	v_fma_f64 v[198:199], v[82:83], s[8:9], v[78:79]
	v_fma_f64 v[78:79], v[82:83], s[8:9], -v[78:79]
	v_add_f64 v[82:83], v[86:87], v[192:193]
	v_add_f64 v[76:77], v[76:77], v[80:81]
	s_delay_alu instid0(VALU_DEP_4) | instskip(SKIP_1) | instid1(VALU_DEP_4)
	v_add_f64 v[196:197], v[198:199], v[196:197]
	v_mul_f64 v[198:199], v[68:69], s[16:17]
	v_add_f64 v[78:79], v[78:79], v[82:83]
	s_delay_alu instid0(VALU_DEP_2) | instskip(SKIP_1) | instid1(VALU_DEP_2)
	v_fma_f64 v[68:69], v[72:73], s[2:3], -v[198:199]
	v_fma_f64 v[72:73], v[72:73], s[2:3], v[198:199]
	v_add_f64 v[68:69], v[68:69], v[194:195]
	v_mul_f64 v[194:195], v[70:71], s[16:17]
	s_delay_alu instid0(VALU_DEP_1) | instskip(SKIP_1) | instid1(VALU_DEP_2)
	v_fma_f64 v[70:71], v[74:75], s[2:3], v[194:195]
	v_fma_f64 v[74:75], v[74:75], s[2:3], -v[194:195]
	v_add_f64 v[196:197], v[70:71], v[196:197]
	v_fma_f64 v[70:71], v[11:12], s[0:1], -v[6:7]
	v_fma_f64 v[6:7], v[11:12], s[0:1], v[6:7]
	v_add_f64 v[11:12], v[72:73], v[76:77]
	s_delay_alu instid0(VALU_DEP_3)
	v_add_f64 v[70:71], v[70:71], v[68:69]
	v_fma_f64 v[68:69], v[42:43], s[0:1], v[9:10]
	v_fma_f64 v[9:10], v[42:43], s[0:1], -v[9:10]
	v_add_f64 v[42:43], v[74:75], v[78:79]
	v_add_f64 v[74:75], v[6:7], v[11:12]
	scratch_load_b32 v6, off, off offset:316 ; 4-byte Folded Reload
	v_add_f64 v[68:69], v[68:69], v[196:197]
	v_add_f64 v[72:73], v[9:10], v[42:43]
	s_waitcnt vmcnt(0)
	v_lshlrev_b32_e32 v6, 4, v6
	ds_store_b128 v6, v[30:33] offset:32
	ds_store_b128 v6, v[34:37] offset:48
	;; [unrolled: 1-line block ×9, first 2 shown]
	ds_store_b128 v6, v[2:5]
	ds_store_b128 v6, v[72:75] offset:160
.LBB0_13:
	s_or_b32 exec_lo, exec_lo, s33
	s_waitcnt lgkmcnt(0)
	s_barrier
	buffer_gl0_inv
	ds_load_b128 v[64:67], v8 offset:2640
	ds_load_b128 v[2:5], v8 offset:1760
	;; [unrolled: 1-line block ×4, first 2 shown]
	s_mov_b32 s8, 0x134454ff
	s_mov_b32 s9, 0xbfee6f0e
	;; [unrolled: 1-line block ×10, first 2 shown]
	s_waitcnt lgkmcnt(3)
	v_mul_f64 v[6:7], v[54:55], v[66:67]
	s_waitcnt lgkmcnt(1)
	v_mul_f64 v[11:12], v[50:51], v[16:17]
	v_mul_f64 v[9:10], v[54:55], v[64:65]
	s_delay_alu instid0(VALU_DEP_3) | instskip(NEXT) | instid1(VALU_DEP_3)
	v_fma_f64 v[6:7], v[52:53], v[64:65], v[6:7]
	v_fma_f64 v[11:12], v[48:49], v[14:15], v[11:12]
	v_mul_f64 v[13:14], v[50:51], v[14:15]
	s_delay_alu instid0(VALU_DEP_4) | instskip(NEXT) | instid1(VALU_DEP_2)
	v_fma_f64 v[9:10], v[52:53], v[66:67], -v[9:10]
	v_fma_f64 v[34:35], v[48:49], v[16:17], -v[13:14]
	ds_load_b128 v[14:17], v8 offset:7920
	ds_load_b128 v[22:25], v8 offset:7040
	s_waitcnt lgkmcnt(1)
	v_mul_f64 v[26:27], v[58:59], v[16:17]
	s_delay_alu instid0(VALU_DEP_1) | instskip(SKIP_1) | instid1(VALU_DEP_2)
	v_fma_f64 v[36:37], v[56:57], v[14:15], v[26:27]
	v_mul_f64 v[13:14], v[58:59], v[14:15]
	v_add_f64 v[84:85], v[11:12], -v[36:37]
	s_delay_alu instid0(VALU_DEP_2)
	v_fma_f64 v[38:39], v[56:57], v[16:17], -v[13:14]
	ds_load_b128 v[14:17], v8 offset:10560
	ds_load_b128 v[26:29], v8 offset:11440
	s_waitcnt lgkmcnt(1)
	v_mul_f64 v[30:31], v[46:47], v[16:17]
	v_add_f64 v[80:81], v[34:35], -v[38:39]
	s_delay_alu instid0(VALU_DEP_2) | instskip(SKIP_1) | instid1(VALU_DEP_2)
	v_fma_f64 v[40:41], v[44:45], v[14:15], v[30:31]
	v_mul_f64 v[13:14], v[46:47], v[14:15]
	v_add_f64 v[86:87], v[6:7], -v[40:41]
	s_delay_alu instid0(VALU_DEP_2)
	v_fma_f64 v[42:43], v[44:45], v[16:17], -v[13:14]
	ds_load_b128 v[14:17], v8 offset:3520
	ds_load_b128 v[30:33], v8 offset:4400
	s_waitcnt lgkmcnt(1)
	v_mul_f64 v[44:45], v[114:115], v[16:17]
	v_add_f64 v[82:83], v[9:10], -v[42:43]
	s_delay_alu instid0(VALU_DEP_2) | instskip(SKIP_1) | instid1(VALU_DEP_1)
	v_fma_f64 v[44:45], v[112:113], v[14:15], v[44:45]
	v_mul_f64 v[13:14], v[114:115], v[14:15]
	v_fma_f64 v[46:47], v[112:113], v[16:17], -v[13:14]
	v_mul_f64 v[13:14], v[106:107], v[20:21]
	s_delay_alu instid0(VALU_DEP_1) | instskip(SKIP_1) | instid1(VALU_DEP_1)
	v_fma_f64 v[48:49], v[104:105], v[18:19], v[13:14]
	v_mul_f64 v[13:14], v[106:107], v[18:19]
	v_fma_f64 v[50:51], v[104:105], v[20:21], -v[13:14]
	ds_load_b128 v[14:17], v8 offset:8800
	ds_load_b128 v[18:21], v8 offset:9680
	s_waitcnt lgkmcnt(1)
	v_mul_f64 v[52:53], v[118:119], v[16:17]
	s_delay_alu instid0(VALU_DEP_1) | instskip(SKIP_1) | instid1(VALU_DEP_1)
	v_fma_f64 v[52:53], v[116:117], v[14:15], v[52:53]
	v_mul_f64 v[13:14], v[118:119], v[14:15]
	v_fma_f64 v[54:55], v[116:117], v[16:17], -v[13:14]
	v_mul_f64 v[13:14], v[110:111], v[28:29]
	s_delay_alu instid0(VALU_DEP_1) | instskip(SKIP_1) | instid1(VALU_DEP_1)
	v_fma_f64 v[56:57], v[108:109], v[26:27], v[13:14]
	v_mul_f64 v[13:14], v[110:111], v[26:27]
	v_fma_f64 v[58:59], v[108:109], v[28:29], -v[13:14]
	;; [unrolled: 5-line block ×3, first 2 shown]
	v_mul_f64 v[13:14], v[122:123], v[24:25]
	s_delay_alu instid0(VALU_DEP_1) | instskip(SKIP_2) | instid1(VALU_DEP_2)
	v_fma_f64 v[68:69], v[120:121], v[22:23], v[13:14]
	v_mul_f64 v[13:14], v[122:123], v[22:23]
	v_add_f64 v[22:23], v[6:7], v[40:41]
	v_fma_f64 v[70:71], v[120:121], v[24:25], -v[13:14]
	s_waitcnt lgkmcnt(0)
	v_mul_f64 v[13:14], v[134:135], v[20:21]
	s_delay_alu instid0(VALU_DEP_1) | instskip(SKIP_1) | instid1(VALU_DEP_1)
	v_fma_f64 v[72:73], v[132:133], v[18:19], v[13:14]
	v_mul_f64 v[13:14], v[134:135], v[18:19]
	v_fma_f64 v[74:75], v[132:133], v[20:21], -v[13:14]
	ds_load_b128 v[14:17], v8 offset:12320
	s_waitcnt lgkmcnt(0)
	v_mul_f64 v[18:19], v[126:127], v[16:17]
	s_delay_alu instid0(VALU_DEP_1) | instskip(SKIP_1) | instid1(VALU_DEP_1)
	v_fma_f64 v[76:77], v[124:125], v[14:15], v[18:19]
	v_mul_f64 v[13:14], v[126:127], v[14:15]
	v_fma_f64 v[78:79], v[124:125], v[16:17], -v[13:14]
	v_add_f64 v[13:14], v[11:12], -v[6:7]
	v_add_f64 v[15:16], v[36:37], -v[40:41]
	s_delay_alu instid0(VALU_DEP_1) | instskip(SKIP_2) | instid1(VALU_DEP_1)
	v_add_f64 v[26:27], v[13:14], v[15:16]
	v_add_f64 v[13:14], v[34:35], -v[9:10]
	v_add_f64 v[15:16], v[38:39], -v[42:43]
	v_add_f64 v[28:29], v[13:14], v[15:16]
	ds_load_b128 v[14:17], v8
	ds_load_b128 v[18:21], v8 offset:880
	s_waitcnt lgkmcnt(0)
	s_barrier
	buffer_gl0_inv
	v_fma_f64 v[30:31], v[22:23], -0.5, v[14:15]
	v_add_f64 v[22:23], v[9:10], v[42:43]
	s_delay_alu instid0(VALU_DEP_1) | instskip(NEXT) | instid1(VALU_DEP_3)
	v_fma_f64 v[32:33], v[22:23], -0.5, v[16:17]
	v_fma_f64 v[22:23], v[80:81], s[12:13], v[30:31]
	v_fma_f64 v[30:31], v[80:81], s[8:9], v[30:31]
	s_delay_alu instid0(VALU_DEP_3) | instskip(NEXT) | instid1(VALU_DEP_3)
	v_fma_f64 v[24:25], v[84:85], s[8:9], v[32:33]
	v_fma_f64 v[22:23], v[82:83], s[0:1], v[22:23]
	;; [unrolled: 1-line block ×3, first 2 shown]
	s_delay_alu instid0(VALU_DEP_4) | instskip(NEXT) | instid1(VALU_DEP_4)
	v_fma_f64 v[30:31], v[82:83], s[2:3], v[30:31]
	v_fma_f64 v[24:25], v[86:87], s[2:3], v[24:25]
	s_delay_alu instid0(VALU_DEP_4) | instskip(NEXT) | instid1(VALU_DEP_4)
	v_fma_f64 v[22:23], v[26:27], s[14:15], v[22:23]
	v_fma_f64 v[32:33], v[86:87], s[0:1], v[32:33]
	s_delay_alu instid0(VALU_DEP_4) | instskip(SKIP_2) | instid1(VALU_DEP_4)
	v_fma_f64 v[26:27], v[26:27], s[14:15], v[30:31]
	v_add_f64 v[30:31], v[11:12], v[36:37]
	v_fma_f64 v[24:25], v[28:29], s[14:15], v[24:25]
	v_fma_f64 v[28:29], v[28:29], s[14:15], v[32:33]
	v_add_f64 v[32:33], v[34:35], v[38:39]
	s_delay_alu instid0(VALU_DEP_4) | instskip(SKIP_2) | instid1(VALU_DEP_4)
	v_fma_f64 v[30:31], v[30:31], -0.5, v[14:15]
	v_add_f64 v[13:14], v[14:15], v[6:7]
	v_add_f64 v[6:7], v[6:7], -v[11:12]
	v_fma_f64 v[32:33], v[32:33], -0.5, v[16:17]
	v_add_f64 v[15:16], v[16:17], v[9:10]
	s_delay_alu instid0(VALU_DEP_4) | instskip(SKIP_1) | instid1(VALU_DEP_3)
	v_add_f64 v[11:12], v[13:14], v[11:12]
	v_add_f64 v[9:10], v[9:10], -v[34:35]
	v_add_f64 v[13:14], v[15:16], v[34:35]
	s_delay_alu instid0(VALU_DEP_3)
	v_add_f64 v[11:12], v[11:12], v[36:37]
	v_add_f64 v[34:35], v[40:41], -v[36:37]
	v_fma_f64 v[36:37], v[82:83], s[8:9], v[30:31]
	v_fma_f64 v[30:31], v[82:83], s[12:13], v[30:31]
	v_add_f64 v[16:17], v[13:14], v[38:39]
	v_add_f64 v[14:15], v[11:12], v[40:41]
	v_add_f64 v[11:12], v[42:43], -v[38:39]
	v_add_f64 v[6:7], v[6:7], v[34:35]
	v_fma_f64 v[34:35], v[80:81], s[2:3], v[30:31]
	v_fma_f64 v[38:39], v[86:87], s[12:13], v[32:33]
	;; [unrolled: 1-line block ×3, first 2 shown]
	v_add_f64 v[16:17], v[16:17], v[42:43]
	v_add_f64 v[9:10], v[9:10], v[11:12]
	v_fma_f64 v[11:12], v[80:81], s[0:1], v[36:37]
	v_fma_f64 v[34:35], v[6:7], s[14:15], v[34:35]
	;; [unrolled: 1-line block ×4, first 2 shown]
	s_delay_alu instid0(VALU_DEP_4)
	v_fma_f64 v[30:31], v[6:7], s[14:15], v[11:12]
	scratch_load_b32 v6, off, off offset:308 ; 4-byte Folded Reload
	v_fma_f64 v[32:33], v[9:10], s[14:15], v[36:37]
	v_fma_f64 v[36:37], v[9:10], s[14:15], v[38:39]
	v_add_f64 v[9:10], v[52:53], -v[56:57]
	v_add_f64 v[11:12], v[54:55], -v[58:59]
	;; [unrolled: 1-line block ×3, first 2 shown]
	s_waitcnt vmcnt(0)
	ds_store_b128 v6, v[14:17]
	ds_store_b128 v6, v[30:33] offset:176
	ds_store_b128 v6, v[22:25] offset:352
	ds_store_b128 v6, v[26:29] offset:528
	ds_store_b128 v6, v[34:37] offset:704
	v_add_f64 v[6:7], v[48:49], -v[44:45]
	v_add_f64 v[13:14], v[46:47], v[58:59]
	v_add_f64 v[26:27], v[50:51], -v[54:55]
	v_add_f64 v[28:29], v[46:47], -v[58:59]
	v_add_f64 v[30:31], v[48:49], -v[52:53]
	v_add_f64 v[32:33], v[44:45], -v[56:57]
	v_add_f64 v[34:35], v[44:45], -v[48:49]
	v_add_f64 v[36:37], v[46:47], -v[50:51]
	v_add_f64 v[6:7], v[6:7], v[9:10]
	v_add_f64 v[9:10], v[50:51], -v[46:47]
	v_fma_f64 v[22:23], v[13:14], -0.5, v[20:21]
	s_delay_alu instid0(VALU_DEP_2) | instskip(SKIP_1) | instid1(VALU_DEP_3)
	v_add_f64 v[9:10], v[9:10], v[11:12]
	v_add_f64 v[11:12], v[44:45], v[56:57]
	v_fma_f64 v[15:16], v[30:31], s[8:9], v[22:23]
	v_fma_f64 v[22:23], v[30:31], s[12:13], v[22:23]
	s_delay_alu instid0(VALU_DEP_3) | instskip(NEXT) | instid1(VALU_DEP_3)
	v_fma_f64 v[11:12], v[11:12], -0.5, v[18:19]
	v_fma_f64 v[16:17], v[32:33], s[2:3], v[15:16]
	s_delay_alu instid0(VALU_DEP_3) | instskip(NEXT) | instid1(VALU_DEP_3)
	v_fma_f64 v[24:25], v[32:33], s[0:1], v[22:23]
	v_fma_f64 v[13:14], v[26:27], s[12:13], v[11:12]
	;; [unrolled: 1-line block ×3, first 2 shown]
	s_delay_alu instid0(VALU_DEP_4) | instskip(NEXT) | instid1(VALU_DEP_4)
	v_fma_f64 v[16:17], v[9:10], s[14:15], v[16:17]
	v_fma_f64 v[24:25], v[9:10], s[14:15], v[24:25]
	v_add_f64 v[9:10], v[50:51], v[54:55]
	v_fma_f64 v[13:14], v[28:29], s[0:1], v[13:14]
	v_fma_f64 v[11:12], v[28:29], s[2:3], v[11:12]
	s_delay_alu instid0(VALU_DEP_3) | instskip(NEXT) | instid1(VALU_DEP_3)
	v_fma_f64 v[9:10], v[9:10], -0.5, v[20:21]
	v_fma_f64 v[14:15], v[6:7], s[14:15], v[13:14]
	s_delay_alu instid0(VALU_DEP_3) | instskip(SKIP_2) | instid1(VALU_DEP_2)
	v_fma_f64 v[22:23], v[6:7], s[14:15], v[11:12]
	v_add_f64 v[6:7], v[48:49], v[52:53]
	v_add_f64 v[11:12], v[18:19], v[44:45]
	v_fma_f64 v[6:7], v[6:7], -0.5, v[18:19]
	v_add_f64 v[18:19], v[20:21], v[46:47]
	s_delay_alu instid0(VALU_DEP_3) | instskip(NEXT) | instid1(VALU_DEP_3)
	v_add_f64 v[11:12], v[11:12], v[48:49]
	v_fma_f64 v[40:41], v[28:29], s[8:9], v[6:7]
	v_fma_f64 v[6:7], v[28:29], s[12:13], v[6:7]
	;; [unrolled: 1-line block ×4, first 2 shown]
	v_add_f64 v[32:33], v[34:35], v[38:39]
	v_add_f64 v[18:19], v[18:19], v[50:51]
	;; [unrolled: 1-line block ×3, first 2 shown]
	v_fma_f64 v[34:35], v[26:27], s[0:1], v[40:41]
	v_fma_f64 v[6:7], v[26:27], s[2:3], v[6:7]
	;; [unrolled: 1-line block ×4, first 2 shown]
	v_add_f64 v[20:21], v[18:19], v[54:55]
	v_add_f64 v[18:19], v[11:12], v[56:57]
	v_add_f64 v[11:12], v[58:59], -v[54:55]
	v_fma_f64 v[26:27], v[32:33], s[14:15], v[34:35]
	v_fma_f64 v[30:31], v[32:33], s[14:15], v[6:7]
	scratch_load_b32 v6, off, off offset:304 ; 4-byte Folded Reload
	v_add_f64 v[34:35], v[78:79], -v[74:75]
	v_add_f64 v[20:21], v[20:21], v[58:59]
	v_add_f64 v[11:12], v[36:37], v[11:12]
	s_delay_alu instid0(VALU_DEP_1)
	v_fma_f64 v[28:29], v[11:12], s[14:15], v[28:29]
	v_fma_f64 v[32:33], v[11:12], s[14:15], v[9:10]
	v_add_f64 v[9:10], v[72:73], -v[76:77]
	v_add_f64 v[11:12], v[74:75], -v[78:79]
	s_waitcnt vmcnt(0)
	ds_store_b128 v6, v[18:21]
	ds_store_b128 v6, v[26:29] offset:176
	ds_store_b128 v6, v[14:17] offset:352
	;; [unrolled: 1-line block ×4, first 2 shown]
	v_add_f64 v[6:7], v[68:69], -v[64:65]
	v_add_f64 v[13:14], v[66:67], v[78:79]
	v_add_f64 v[22:23], v[70:71], -v[74:75]
	v_add_f64 v[24:25], v[66:67], -v[78:79]
	;; [unrolled: 1-line block ×6, first 2 shown]
	v_add_f64 v[6:7], v[6:7], v[9:10]
	v_add_f64 v[9:10], v[70:71], -v[66:67]
	v_fma_f64 v[18:19], v[13:14], -0.5, v[4:5]
	s_delay_alu instid0(VALU_DEP_2) | instskip(SKIP_1) | instid1(VALU_DEP_3)
	v_add_f64 v[9:10], v[9:10], v[11:12]
	v_add_f64 v[11:12], v[64:65], v[76:77]
	v_fma_f64 v[15:16], v[26:27], s[8:9], v[18:19]
	v_fma_f64 v[18:19], v[26:27], s[12:13], v[18:19]
	s_delay_alu instid0(VALU_DEP_3) | instskip(NEXT) | instid1(VALU_DEP_3)
	v_fma_f64 v[11:12], v[11:12], -0.5, v[2:3]
	v_fma_f64 v[16:17], v[28:29], s[2:3], v[15:16]
	s_delay_alu instid0(VALU_DEP_3) | instskip(NEXT) | instid1(VALU_DEP_3)
	v_fma_f64 v[20:21], v[28:29], s[0:1], v[18:19]
	v_fma_f64 v[13:14], v[22:23], s[12:13], v[11:12]
	;; [unrolled: 1-line block ×3, first 2 shown]
	s_delay_alu instid0(VALU_DEP_4) | instskip(NEXT) | instid1(VALU_DEP_4)
	v_fma_f64 v[16:17], v[9:10], s[14:15], v[16:17]
	v_fma_f64 v[20:21], v[9:10], s[14:15], v[20:21]
	v_add_f64 v[9:10], v[70:71], v[74:75]
	v_fma_f64 v[13:14], v[24:25], s[0:1], v[13:14]
	v_fma_f64 v[11:12], v[24:25], s[2:3], v[11:12]
	s_delay_alu instid0(VALU_DEP_3) | instskip(SKIP_1) | instid1(VALU_DEP_4)
	v_fma_f64 v[9:10], v[9:10], -0.5, v[4:5]
	v_add_f64 v[4:5], v[4:5], v[66:67]
	v_fma_f64 v[14:15], v[6:7], s[14:15], v[13:14]
	s_delay_alu instid0(VALU_DEP_4) | instskip(SKIP_3) | instid1(VALU_DEP_3)
	v_fma_f64 v[18:19], v[6:7], s[14:15], v[11:12]
	v_add_f64 v[6:7], v[68:69], v[72:73]
	v_add_f64 v[11:12], v[64:65], -v[68:69]
	v_add_f64 v[4:5], v[4:5], v[70:71]
	v_fma_f64 v[6:7], v[6:7], -0.5, v[2:3]
	s_delay_alu instid0(VALU_DEP_3) | instskip(SKIP_1) | instid1(VALU_DEP_4)
	v_add_f64 v[11:12], v[11:12], v[32:33]
	v_add_f64 v[2:3], v[2:3], v[64:65]
	;; [unrolled: 1-line block ×3, first 2 shown]
	s_delay_alu instid0(VALU_DEP_4)
	v_fma_f64 v[36:37], v[24:25], s[8:9], v[6:7]
	v_fma_f64 v[6:7], v[24:25], s[12:13], v[6:7]
	;; [unrolled: 1-line block ×4, first 2 shown]
	v_add_f64 v[2:3], v[2:3], v[68:69]
	v_add_f64 v[28:29], v[30:31], v[34:35]
	;; [unrolled: 1-line block ×3, first 2 shown]
	v_fma_f64 v[30:31], v[22:23], s[0:1], v[36:37]
	v_fma_f64 v[6:7], v[22:23], s[2:3], v[6:7]
	v_fma_f64 v[24:25], v[26:27], s[2:3], v[24:25]
	v_fma_f64 v[9:10], v[26:27], s[0:1], v[9:10]
	v_add_f64 v[2:3], v[2:3], v[72:73]
	v_fma_f64 v[22:23], v[11:12], s[14:15], v[30:31]
	v_fma_f64 v[26:27], v[11:12], s[14:15], v[6:7]
	scratch_load_b32 v6, off, off offset:300 ; 4-byte Folded Reload
	v_fma_f64 v[24:25], v[28:29], s[14:15], v[24:25]
	v_add_f64 v[2:3], v[2:3], v[76:77]
	v_fma_f64 v[28:29], v[28:29], s[14:15], v[9:10]
	s_waitcnt vmcnt(0)
	ds_store_b128 v6, v[2:5]
	ds_store_b128 v6, v[22:25] offset:176
	ds_store_b128 v6, v[14:17] offset:352
	ds_store_b128 v6, v[18:21] offset:528
	ds_store_b128 v6, v[26:29] offset:704
	s_waitcnt lgkmcnt(0)
	s_barrier
	buffer_gl0_inv
	ds_load_b128 v[44:47], v8 offset:2640
	ds_load_b128 v[2:5], v8 offset:1760
	s_waitcnt lgkmcnt(1)
	v_mul_f64 v[9:10], v[62:63], v[44:45]
	v_mul_f64 v[6:7], v[62:63], v[46:47]
	s_delay_alu instid0(VALU_DEP_2)
	v_fma_f64 v[30:31], v[60:61], v[46:47], -v[9:10]
	ds_load_b128 v[9:12], v8 offset:3520
	ds_load_b128 v[14:17], v8 offset:4400
	v_fma_f64 v[6:7], v[60:61], v[44:45], v[6:7]
	s_waitcnt lgkmcnt(1)
	v_mul_f64 v[18:19], v[62:63], v[11:12]
	s_delay_alu instid0(VALU_DEP_1) | instskip(SKIP_1) | instid1(VALU_DEP_1)
	v_fma_f64 v[42:43], v[60:61], v[9:10], v[18:19]
	v_mul_f64 v[9:10], v[62:63], v[9:10]
	v_fma_f64 v[44:45], v[60:61], v[11:12], -v[9:10]
	ds_load_b128 v[9:12], v8 offset:5280
	ds_load_b128 v[18:21], v8 offset:6160
	s_waitcnt lgkmcnt(1)
	v_mul_f64 v[22:23], v[102:103], v[11:12]
	s_delay_alu instid0(VALU_DEP_1) | instskip(SKIP_1) | instid1(VALU_DEP_1)
	v_fma_f64 v[32:33], v[100:101], v[9:10], v[22:23]
	v_mul_f64 v[9:10], v[102:103], v[9:10]
	v_fma_f64 v[34:35], v[100:101], v[11:12], -v[9:10]
	s_waitcnt lgkmcnt(0)
	v_mul_f64 v[9:10], v[102:103], v[20:21]
	s_delay_alu instid0(VALU_DEP_1) | instskip(SKIP_1) | instid1(VALU_DEP_1)
	v_fma_f64 v[46:47], v[100:101], v[18:19], v[9:10]
	v_mul_f64 v[9:10], v[102:103], v[18:19]
	v_fma_f64 v[48:49], v[100:101], v[20:21], -v[9:10]
	ds_load_b128 v[9:12], v8 offset:7920
	ds_load_b128 v[18:21], v8 offset:7040
	s_waitcnt lgkmcnt(1)
	v_mul_f64 v[22:23], v[174:175], v[11:12]
	s_delay_alu instid0(VALU_DEP_1) | instskip(SKIP_1) | instid1(VALU_DEP_2)
	v_fma_f64 v[36:37], v[172:173], v[9:10], v[22:23]
	v_mul_f64 v[9:10], v[174:175], v[9:10]
	v_add_f64 v[82:83], v[32:33], -v[36:37]
	s_delay_alu instid0(VALU_DEP_2)
	v_fma_f64 v[38:39], v[172:173], v[11:12], -v[9:10]
	ds_load_b128 v[9:12], v8 offset:8800
	ds_load_b128 v[22:25], v8 offset:9680
	s_waitcnt lgkmcnt(1)
	v_mul_f64 v[26:27], v[174:175], v[11:12]
	v_add_f64 v[78:79], v[34:35], -v[38:39]
	s_delay_alu instid0(VALU_DEP_2) | instskip(SKIP_1) | instid1(VALU_DEP_1)
	v_fma_f64 v[50:51], v[172:173], v[9:10], v[26:27]
	v_mul_f64 v[9:10], v[174:175], v[9:10]
	v_fma_f64 v[52:53], v[172:173], v[11:12], -v[9:10]
	ds_load_b128 v[9:12], v8 offset:10560
	ds_load_b128 v[26:29], v8 offset:11440
	s_waitcnt lgkmcnt(1)
	v_mul_f64 v[40:41], v[170:171], v[11:12]
	s_delay_alu instid0(VALU_DEP_1) | instskip(SKIP_1) | instid1(VALU_DEP_2)
	v_fma_f64 v[40:41], v[168:169], v[9:10], v[40:41]
	v_mul_f64 v[9:10], v[170:171], v[9:10]
	v_add_f64 v[80:81], v[6:7], -v[40:41]
	s_delay_alu instid0(VALU_DEP_2) | instskip(SKIP_2) | instid1(VALU_DEP_2)
	v_fma_f64 v[54:55], v[168:169], v[11:12], -v[9:10]
	s_waitcnt lgkmcnt(0)
	v_mul_f64 v[9:10], v[170:171], v[28:29]
	v_add_f64 v[76:77], v[30:31], -v[54:55]
	s_delay_alu instid0(VALU_DEP_2) | instskip(SKIP_1) | instid1(VALU_DEP_1)
	v_fma_f64 v[56:57], v[168:169], v[26:27], v[9:10]
	v_mul_f64 v[9:10], v[170:171], v[26:27]
	v_fma_f64 v[58:59], v[168:169], v[28:29], -v[9:10]
	v_mul_f64 v[9:10], v[186:187], v[16:17]
	s_delay_alu instid0(VALU_DEP_1) | instskip(SKIP_1) | instid1(VALU_DEP_1)
	v_fma_f64 v[60:61], v[184:185], v[14:15], v[9:10]
	v_mul_f64 v[9:10], v[186:187], v[14:15]
	v_fma_f64 v[62:63], v[184:185], v[16:17], -v[9:10]
	v_mul_f64 v[9:10], v[178:179], v[20:21]
	s_delay_alu instid0(VALU_DEP_1) | instskip(SKIP_2) | instid1(VALU_DEP_2)
	v_fma_f64 v[64:65], v[176:177], v[18:19], v[9:10]
	v_mul_f64 v[9:10], v[178:179], v[18:19]
	v_add_f64 v[18:19], v[32:33], v[36:37]
	v_fma_f64 v[66:67], v[176:177], v[20:21], -v[9:10]
	v_mul_f64 v[9:10], v[190:191], v[24:25]
	s_delay_alu instid0(VALU_DEP_1) | instskip(SKIP_1) | instid1(VALU_DEP_1)
	v_fma_f64 v[68:69], v[188:189], v[22:23], v[9:10]
	v_mul_f64 v[9:10], v[190:191], v[22:23]
	v_fma_f64 v[70:71], v[188:189], v[24:25], -v[9:10]
	ds_load_b128 v[9:12], v8 offset:12320
	s_waitcnt lgkmcnt(0)
	v_mul_f64 v[13:14], v[182:183], v[11:12]
	s_delay_alu instid0(VALU_DEP_1) | instskip(SKIP_1) | instid1(VALU_DEP_1)
	v_fma_f64 v[72:73], v[180:181], v[9:10], v[13:14]
	v_mul_f64 v[9:10], v[182:183], v[9:10]
	v_fma_f64 v[74:75], v[180:181], v[11:12], -v[9:10]
	v_add_f64 v[9:10], v[6:7], -v[32:33]
	v_add_f64 v[11:12], v[40:41], -v[36:37]
	s_delay_alu instid0(VALU_DEP_1) | instskip(SKIP_2) | instid1(VALU_DEP_1)
	v_add_f64 v[22:23], v[9:10], v[11:12]
	v_add_f64 v[9:10], v[30:31], -v[34:35]
	v_add_f64 v[11:12], v[54:55], -v[38:39]
	v_add_f64 v[24:25], v[9:10], v[11:12]
	ds_load_b128 v[9:12], v8
	ds_load_b128 v[14:17], v8 offset:880
	s_waitcnt lgkmcnt(0)
	s_barrier
	buffer_gl0_inv
	v_fma_f64 v[26:27], v[18:19], -0.5, v[9:10]
	v_add_f64 v[18:19], v[34:35], v[38:39]
	s_delay_alu instid0(VALU_DEP_1) | instskip(NEXT) | instid1(VALU_DEP_3)
	v_fma_f64 v[28:29], v[18:19], -0.5, v[11:12]
	v_fma_f64 v[18:19], v[76:77], s[8:9], v[26:27]
	v_fma_f64 v[26:27], v[76:77], s[12:13], v[26:27]
	s_delay_alu instid0(VALU_DEP_3) | instskip(NEXT) | instid1(VALU_DEP_3)
	v_fma_f64 v[20:21], v[80:81], s[12:13], v[28:29]
	v_fma_f64 v[18:19], v[78:79], s[0:1], v[18:19]
	;; [unrolled: 1-line block ×3, first 2 shown]
	s_delay_alu instid0(VALU_DEP_4) | instskip(NEXT) | instid1(VALU_DEP_4)
	v_fma_f64 v[26:27], v[78:79], s[2:3], v[26:27]
	v_fma_f64 v[20:21], v[82:83], s[2:3], v[20:21]
	s_delay_alu instid0(VALU_DEP_4) | instskip(NEXT) | instid1(VALU_DEP_4)
	v_fma_f64 v[18:19], v[22:23], s[14:15], v[18:19]
	v_fma_f64 v[28:29], v[82:83], s[0:1], v[28:29]
	s_delay_alu instid0(VALU_DEP_4) | instskip(SKIP_2) | instid1(VALU_DEP_4)
	v_fma_f64 v[22:23], v[22:23], s[14:15], v[26:27]
	v_add_f64 v[26:27], v[6:7], v[40:41]
	v_fma_f64 v[20:21], v[24:25], s[14:15], v[20:21]
	v_fma_f64 v[24:25], v[24:25], s[14:15], v[28:29]
	v_add_f64 v[28:29], v[30:31], v[54:55]
	s_delay_alu instid0(VALU_DEP_4) | instskip(SKIP_2) | instid1(VALU_DEP_4)
	v_fma_f64 v[26:27], v[26:27], -0.5, v[9:10]
	v_add_f64 v[9:10], v[9:10], v[6:7]
	v_add_f64 v[6:7], v[32:33], -v[6:7]
	v_fma_f64 v[28:29], v[28:29], -0.5, v[11:12]
	v_add_f64 v[11:12], v[11:12], v[30:31]
	s_delay_alu instid0(VALU_DEP_4) | instskip(SKIP_2) | instid1(VALU_DEP_4)
	v_add_f64 v[9:10], v[9:10], v[32:33]
	v_add_f64 v[30:31], v[34:35], -v[30:31]
	v_add_f64 v[32:33], v[36:37], -v[40:41]
	v_add_f64 v[11:12], v[11:12], v[34:35]
	s_delay_alu instid0(VALU_DEP_4)
	v_add_f64 v[9:10], v[9:10], v[36:37]
	v_add_f64 v[34:35], v[38:39], -v[54:55]
	v_fma_f64 v[36:37], v[78:79], s[12:13], v[26:27]
	v_fma_f64 v[26:27], v[78:79], s[8:9], v[26:27]
	v_add_f64 v[6:7], v[6:7], v[32:33]
	v_add_f64 v[78:79], v[48:49], -v[52:53]
	v_add_f64 v[11:12], v[11:12], v[38:39]
	v_fma_f64 v[38:39], v[82:83], s[8:9], v[28:29]
	v_add_f64 v[32:33], v[30:31], v[34:35]
	v_fma_f64 v[30:31], v[76:77], s[0:1], v[36:37]
	v_fma_f64 v[34:35], v[76:77], s[2:3], v[26:27]
	;; [unrolled: 1-line block ×3, first 2 shown]
	v_add_f64 v[9:10], v[9:10], v[40:41]
	v_add_f64 v[76:77], v[44:45], -v[58:59]
	v_add_f64 v[82:83], v[46:47], -v[50:51]
	v_add_f64 v[11:12], v[11:12], v[54:55]
	v_fma_f64 v[36:37], v[80:81], s[2:3], v[38:39]
	v_fma_f64 v[26:27], v[6:7], s[14:15], v[30:31]
	v_fma_f64 v[30:31], v[6:7], s[14:15], v[34:35]
	v_add_f64 v[6:7], v[42:43], -v[46:47]
	v_add_f64 v[34:35], v[56:57], -v[50:51]
	v_fma_f64 v[38:39], v[80:81], s[0:1], v[28:29]
	v_add_f64 v[80:81], v[42:43], -v[56:57]
	v_fma_f64 v[28:29], v[32:33], s[14:15], v[36:37]
	v_add_f64 v[36:37], v[58:59], -v[52:53]
	v_add_f64 v[6:7], v[6:7], v[34:35]
	v_add_f64 v[34:35], v[44:45], -v[48:49]
	v_fma_f64 v[32:33], v[32:33], s[14:15], v[38:39]
	s_delay_alu instid0(VALU_DEP_2) | instskip(SKIP_1) | instid1(VALU_DEP_1)
	v_add_f64 v[40:41], v[34:35], v[36:37]
	v_add_f64 v[34:35], v[46:47], v[50:51]
	v_fma_f64 v[38:39], v[34:35], -0.5, v[14:15]
	v_add_f64 v[34:35], v[48:49], v[52:53]
	s_delay_alu instid0(VALU_DEP_1) | instskip(NEXT) | instid1(VALU_DEP_3)
	v_fma_f64 v[54:55], v[34:35], -0.5, v[16:17]
	v_fma_f64 v[34:35], v[76:77], s[8:9], v[38:39]
	v_fma_f64 v[38:39], v[76:77], s[12:13], v[38:39]
	s_delay_alu instid0(VALU_DEP_3) | instskip(SKIP_1) | instid1(VALU_DEP_4)
	v_fma_f64 v[36:37], v[80:81], s[12:13], v[54:55]
	v_fma_f64 v[54:55], v[80:81], s[8:9], v[54:55]
	;; [unrolled: 1-line block ×3, first 2 shown]
	s_delay_alu instid0(VALU_DEP_4) | instskip(NEXT) | instid1(VALU_DEP_4)
	v_fma_f64 v[38:39], v[78:79], s[2:3], v[38:39]
	v_fma_f64 v[36:37], v[82:83], s[2:3], v[36:37]
	s_delay_alu instid0(VALU_DEP_4) | instskip(NEXT) | instid1(VALU_DEP_4)
	v_fma_f64 v[54:55], v[82:83], s[0:1], v[54:55]
	v_fma_f64 v[34:35], v[6:7], s[14:15], v[34:35]
	s_delay_alu instid0(VALU_DEP_4) | instskip(SKIP_4) | instid1(VALU_DEP_4)
	v_fma_f64 v[38:39], v[6:7], s[14:15], v[38:39]
	v_add_f64 v[6:7], v[42:43], v[56:57]
	v_fma_f64 v[36:37], v[40:41], s[14:15], v[36:37]
	v_fma_f64 v[40:41], v[40:41], s[14:15], v[54:55]
	v_add_f64 v[54:55], v[44:45], v[58:59]
	v_fma_f64 v[6:7], v[6:7], -0.5, v[14:15]
	v_add_f64 v[13:14], v[14:15], v[42:43]
	v_add_f64 v[42:43], v[46:47], -v[42:43]
	s_delay_alu instid0(VALU_DEP_4) | instskip(SKIP_4) | instid1(VALU_DEP_4)
	v_fma_f64 v[54:55], v[54:55], -0.5, v[16:17]
	v_add_f64 v[15:16], v[16:17], v[44:45]
	v_add_f64 v[44:45], v[48:49], -v[44:45]
	v_add_f64 v[13:14], v[13:14], v[46:47]
	v_add_f64 v[46:47], v[50:51], -v[56:57]
	;; [unrolled: 2-line block ×3, first 2 shown]
	s_delay_alu instid0(VALU_DEP_4)
	v_add_f64 v[13:14], v[13:14], v[50:51]
	v_fma_f64 v[50:51], v[78:79], s[12:13], v[6:7]
	v_fma_f64 v[6:7], v[78:79], s[8:9], v[6:7]
	v_add_f64 v[46:47], v[42:43], v[46:47]
	v_add_f64 v[78:79], v[62:63], -v[74:75]
	v_add_f64 v[16:17], v[15:16], v[52:53]
	v_fma_f64 v[52:53], v[82:83], s[8:9], v[54:55]
	v_fma_f64 v[54:55], v[82:83], s[12:13], v[54:55]
	v_add_f64 v[48:49], v[44:45], v[48:49]
	v_fma_f64 v[42:43], v[76:77], s[0:1], v[50:51]
	v_fma_f64 v[6:7], v[76:77], s[2:3], v[6:7]
	v_add_f64 v[14:15], v[13:14], v[56:57]
	v_add_f64 v[76:77], v[66:67], -v[70:71]
	v_add_f64 v[82:83], v[60:61], -v[72:73]
	v_add_f64 v[16:17], v[16:17], v[58:59]
	v_fma_f64 v[44:45], v[80:81], s[2:3], v[52:53]
	v_fma_f64 v[50:51], v[80:81], s[0:1], v[54:55]
	v_add_f64 v[52:53], v[70:71], -v[74:75]
	v_fma_f64 v[42:43], v[46:47], s[14:15], v[42:43]
	v_fma_f64 v[46:47], v[46:47], s[14:15], v[6:7]
	v_add_f64 v[6:7], v[64:65], -v[60:61]
	v_add_f64 v[80:81], v[64:65], -v[68:69]
	v_fma_f64 v[44:45], v[48:49], s[14:15], v[44:45]
	v_fma_f64 v[48:49], v[48:49], s[14:15], v[50:51]
	v_add_f64 v[50:51], v[68:69], -v[72:73]
	ds_store_b128 v8, v[9:12]
	ds_store_b128 v8, v[18:21] offset:880
	ds_store_b128 v8, v[26:29] offset:1760
	;; [unrolled: 1-line block ×9, first 2 shown]
	v_add_f64 v[6:7], v[6:7], v[50:51]
	v_add_f64 v[50:51], v[66:67], -v[62:63]
	s_delay_alu instid0(VALU_DEP_1) | instskip(SKIP_1) | instid1(VALU_DEP_1)
	v_add_f64 v[56:57], v[50:51], v[52:53]
	v_add_f64 v[50:51], v[60:61], v[72:73]
	v_fma_f64 v[54:55], v[50:51], -0.5, v[2:3]
	v_add_f64 v[50:51], v[62:63], v[74:75]
	s_delay_alu instid0(VALU_DEP_1) | instskip(NEXT) | instid1(VALU_DEP_3)
	v_fma_f64 v[58:59], v[50:51], -0.5, v[4:5]
	v_fma_f64 v[50:51], v[76:77], s[12:13], v[54:55]
	v_fma_f64 v[54:55], v[76:77], s[8:9], v[54:55]
	s_delay_alu instid0(VALU_DEP_3) | instskip(SKIP_1) | instid1(VALU_DEP_4)
	v_fma_f64 v[52:53], v[80:81], s[8:9], v[58:59]
	v_fma_f64 v[58:59], v[80:81], s[12:13], v[58:59]
	;; [unrolled: 1-line block ×3, first 2 shown]
	s_delay_alu instid0(VALU_DEP_4) | instskip(NEXT) | instid1(VALU_DEP_4)
	v_fma_f64 v[54:55], v[78:79], s[2:3], v[54:55]
	v_fma_f64 v[52:53], v[82:83], s[2:3], v[52:53]
	s_delay_alu instid0(VALU_DEP_4) | instskip(NEXT) | instid1(VALU_DEP_4)
	v_fma_f64 v[58:59], v[82:83], s[0:1], v[58:59]
	v_fma_f64 v[50:51], v[6:7], s[14:15], v[50:51]
	s_delay_alu instid0(VALU_DEP_4) | instskip(SKIP_4) | instid1(VALU_DEP_4)
	v_fma_f64 v[54:55], v[6:7], s[14:15], v[54:55]
	v_add_f64 v[6:7], v[64:65], v[68:69]
	v_fma_f64 v[52:53], v[56:57], s[14:15], v[52:53]
	v_fma_f64 v[56:57], v[56:57], s[14:15], v[58:59]
	v_add_f64 v[58:59], v[66:67], v[70:71]
	v_fma_f64 v[6:7], v[6:7], -0.5, v[2:3]
	v_add_f64 v[2:3], v[2:3], v[60:61]
	v_add_f64 v[60:61], v[60:61], -v[64:65]
	s_delay_alu instid0(VALU_DEP_4) | instskip(SKIP_4) | instid1(VALU_DEP_4)
	v_fma_f64 v[58:59], v[58:59], -0.5, v[4:5]
	v_add_f64 v[4:5], v[4:5], v[62:63]
	v_add_f64 v[62:63], v[62:63], -v[66:67]
	v_add_f64 v[2:3], v[2:3], v[64:65]
	v_add_f64 v[64:65], v[72:73], -v[68:69]
	;; [unrolled: 2-line block ×3, first 2 shown]
	s_delay_alu instid0(VALU_DEP_4)
	v_add_f64 v[2:3], v[2:3], v[68:69]
	v_fma_f64 v[68:69], v[78:79], s[8:9], v[6:7]
	v_fma_f64 v[6:7], v[78:79], s[12:13], v[6:7]
	v_add_f64 v[64:65], v[60:61], v[64:65]
	v_add_f64 v[4:5], v[4:5], v[70:71]
	v_fma_f64 v[70:71], v[82:83], s[12:13], v[58:59]
	v_fma_f64 v[58:59], v[82:83], s[8:9], v[58:59]
	v_add_f64 v[66:67], v[62:63], v[66:67]
	v_fma_f64 v[60:61], v[76:77], s[0:1], v[68:69]
	v_fma_f64 v[6:7], v[76:77], s[2:3], v[6:7]
	v_add_f64 v[2:3], v[2:3], v[72:73]
	v_add_f64 v[4:5], v[4:5], v[74:75]
	v_fma_f64 v[62:63], v[80:81], s[2:3], v[70:71]
	v_fma_f64 v[68:69], v[80:81], s[0:1], v[58:59]
	s_mov_b32 s0, 0xe8584caa
	v_fma_f64 v[58:59], v[64:65], s[14:15], v[60:61]
	s_mov_b32 s1, 0xbfebb67a
	s_mov_b32 s3, 0x3febb67a
	s_mov_b32 s2, s0
	s_delay_alu instid0(VALU_DEP_3)
	v_fma_f64 v[60:61], v[66:67], s[14:15], v[62:63]
	v_fma_f64 v[62:63], v[64:65], s[14:15], v[6:7]
	scratch_load_b32 v6, off, off offset:312 ; 4-byte Folded Reload
	v_fma_f64 v[64:65], v[66:67], s[14:15], v[68:69]
	s_waitcnt vmcnt(0)
	ds_store_b128 v6, v[2:5] offset:8800
	ds_store_b128 v6, v[58:61] offset:9680
	;; [unrolled: 1-line block ×5, first 2 shown]
	s_waitcnt lgkmcnt(0)
	s_barrier
	buffer_gl0_inv
	ds_load_b128 v[2:5], v8 offset:4400
	ds_load_b128 v[9:12], v8 offset:3520
	s_waitcnt lgkmcnt(1)
	v_mul_f64 v[6:7], v[98:99], v[4:5]
	s_delay_alu instid0(VALU_DEP_1) | instskip(SKIP_1) | instid1(VALU_DEP_1)
	v_fma_f64 v[6:7], v[96:97], v[2:3], v[6:7]
	v_mul_f64 v[2:3], v[98:99], v[2:3]
	v_fma_f64 v[21:22], v[96:97], v[4:5], -v[2:3]
	ds_load_b128 v[2:5], v8 offset:8800
	ds_load_b128 v[13:16], v8 offset:9680
	s_waitcnt lgkmcnt(1)
	v_mul_f64 v[17:18], v[94:95], v[4:5]
	s_delay_alu instid0(VALU_DEP_1) | instskip(SKIP_1) | instid1(VALU_DEP_1)
	v_fma_f64 v[23:24], v[92:93], v[2:3], v[17:18]
	v_mul_f64 v[2:3], v[94:95], v[2:3]
	v_fma_f64 v[25:26], v[92:93], v[4:5], -v[2:3]
	;; [unrolled: 8-line block ×3, first 2 shown]
	v_mul_f64 v[2:3], v[138:139], v[15:16]
	s_delay_alu instid0(VALU_DEP_1) | instskip(SKIP_1) | instid1(VALU_DEP_1)
	v_fma_f64 v[31:32], v[136:137], v[13:14], v[2:3]
	v_mul_f64 v[2:3], v[138:139], v[13:14]
	v_fma_f64 v[33:34], v[136:137], v[15:16], -v[2:3]
	s_waitcnt lgkmcnt(0)
	v_mul_f64 v[2:3], v[150:151], v[19:20]
	s_delay_alu instid0(VALU_DEP_1) | instskip(SKIP_1) | instid1(VALU_DEP_1)
	v_fma_f64 v[41:42], v[148:149], v[17:18], v[2:3]
	v_mul_f64 v[2:3], v[150:151], v[17:18]
	v_fma_f64 v[43:44], v[148:149], v[19:20], -v[2:3]
	ds_load_b128 v[2:5], v8 offset:10560
	ds_load_b128 v[13:16], v8 offset:11440
	s_waitcnt lgkmcnt(1)
	v_mul_f64 v[17:18], v[146:147], v[4:5]
	s_delay_alu instid0(VALU_DEP_1) | instskip(SKIP_1) | instid1(VALU_DEP_1)
	v_fma_f64 v[45:46], v[144:145], v[2:3], v[17:18]
	v_mul_f64 v[2:3], v[146:147], v[2:3]
	v_fma_f64 v[47:48], v[144:145], v[4:5], -v[2:3]
	ds_load_b128 v[2:5], v8 offset:7040
	ds_load_b128 v[17:20], v8 offset:7920
	s_waitcnt lgkmcnt(1)
	v_mul_f64 v[35:36], v[158:159], v[4:5]
	v_add_f64 v[65:66], v[43:44], v[47:48]
	s_delay_alu instid0(VALU_DEP_2) | instskip(SKIP_1) | instid1(VALU_DEP_1)
	v_fma_f64 v[49:50], v[156:157], v[2:3], v[35:36]
	v_mul_f64 v[2:3], v[158:159], v[2:3]
	v_fma_f64 v[51:52], v[156:157], v[4:5], -v[2:3]
	v_mul_f64 v[2:3], v[154:155], v[15:16]
	s_delay_alu instid0(VALU_DEP_1) | instskip(SKIP_1) | instid1(VALU_DEP_2)
	v_fma_f64 v[53:54], v[152:153], v[13:14], v[2:3]
	v_mul_f64 v[2:3], v[154:155], v[13:14]
	v_add_f64 v[67:68], v[49:50], -v[53:54]
	s_delay_alu instid0(VALU_DEP_2) | instskip(SKIP_2) | instid1(VALU_DEP_1)
	v_fma_f64 v[55:56], v[152:153], v[15:16], -v[2:3]
	s_waitcnt lgkmcnt(0)
	v_mul_f64 v[2:3], v[166:167], v[19:20]
	v_fma_f64 v[57:58], v[164:165], v[17:18], v[2:3]
	v_mul_f64 v[2:3], v[166:167], v[17:18]
	v_add_f64 v[17:18], v[6:7], v[23:24]
	s_delay_alu instid0(VALU_DEP_2) | instskip(SKIP_3) | instid1(VALU_DEP_1)
	v_fma_f64 v[59:60], v[164:165], v[19:20], -v[2:3]
	ds_load_b128 v[2:5], v8 offset:12320
	s_waitcnt lgkmcnt(0)
	v_mul_f64 v[13:14], v[162:163], v[4:5]
	v_fma_f64 v[61:62], v[160:161], v[2:3], v[13:14]
	v_mul_f64 v[2:3], v[162:163], v[2:3]
	s_delay_alu instid0(VALU_DEP_1)
	v_fma_f64 v[63:64], v[160:161], v[4:5], -v[2:3]
	ds_load_b128 v[2:5], v8
	ds_load_b128 v[13:16], v8 offset:880
	s_waitcnt lgkmcnt(1)
	v_fma_f64 v[19:20], v[17:18], -0.5, v[2:3]
	v_add_f64 v[17:18], v[21:22], v[25:26]
	v_add_f64 v[2:3], v[2:3], v[6:7]
	v_add_f64 v[6:7], v[6:7], -v[23:24]
	s_delay_alu instid0(VALU_DEP_3) | instskip(SKIP_3) | instid1(VALU_DEP_4)
	v_fma_f64 v[35:36], v[17:18], -0.5, v[4:5]
	v_add_f64 v[4:5], v[4:5], v[21:22]
	v_add_f64 v[21:22], v[21:22], -v[25:26]
	v_add_f64 v[2:3], v[2:3], v[23:24]
	v_fma_f64 v[23:24], v[6:7], s[0:1], v[35:36]
	s_delay_alu instid0(VALU_DEP_4) | instskip(NEXT) | instid1(VALU_DEP_4)
	v_add_f64 v[4:5], v[4:5], v[25:26]
	v_fma_f64 v[17:18], v[21:22], s[0:1], v[19:20]
	v_fma_f64 v[21:22], v[21:22], s[2:3], v[19:20]
	;; [unrolled: 1-line block ×3, first 2 shown]
	v_add_f64 v[6:7], v[27:28], v[31:32]
	v_add_f64 v[25:26], v[29:30], v[33:34]
	s_waitcnt lgkmcnt(0)
	s_delay_alu instid0(VALU_DEP_2) | instskip(SKIP_1) | instid1(VALU_DEP_3)
	v_fma_f64 v[6:7], v[6:7], -0.5, v[13:14]
	v_add_f64 v[13:14], v[13:14], v[27:28]
	v_fma_f64 v[35:36], v[25:26], -0.5, v[15:16]
	v_add_f64 v[15:16], v[15:16], v[29:30]
	v_add_f64 v[29:30], v[29:30], -v[33:34]
	s_delay_alu instid0(VALU_DEP_4) | instskip(SKIP_1) | instid1(VALU_DEP_4)
	v_add_f64 v[13:14], v[13:14], v[31:32]
	v_add_f64 v[31:32], v[27:28], -v[31:32]
	v_add_f64 v[15:16], v[15:16], v[33:34]
	s_delay_alu instid0(VALU_DEP_4)
	v_fma_f64 v[25:26], v[29:30], s[0:1], v[6:7]
	v_fma_f64 v[29:30], v[29:30], s[2:3], v[6:7]
	v_add_f64 v[6:7], v[41:42], v[45:46]
	v_fma_f64 v[27:28], v[31:32], s[2:3], v[35:36]
	v_fma_f64 v[31:32], v[31:32], s[0:1], v[35:36]
	ds_load_b128 v[33:36], v8 offset:1760
	ds_load_b128 v[37:40], v8 offset:2640
	s_waitcnt lgkmcnt(1)
	v_fma_f64 v[65:66], v[65:66], -0.5, v[35:36]
	v_add_f64 v[35:36], v[35:36], v[43:44]
	v_fma_f64 v[6:7], v[6:7], -0.5, v[33:34]
	v_add_f64 v[33:34], v[33:34], v[41:42]
	v_add_f64 v[43:44], v[43:44], -v[47:48]
	s_delay_alu instid0(VALU_DEP_4) | instskip(SKIP_1) | instid1(VALU_DEP_4)
	v_add_f64 v[35:36], v[35:36], v[47:48]
	v_add_f64 v[47:48], v[41:42], -v[45:46]
	v_add_f64 v[33:34], v[33:34], v[45:46]
	s_delay_alu instid0(VALU_DEP_4)
	v_fma_f64 v[41:42], v[43:44], s[0:1], v[6:7]
	v_fma_f64 v[45:46], v[43:44], s[2:3], v[6:7]
	v_add_f64 v[6:7], v[49:50], v[53:54]
	v_fma_f64 v[43:44], v[47:48], s[2:3], v[65:66]
	v_fma_f64 v[47:48], v[47:48], s[0:1], v[65:66]
	v_add_f64 v[65:66], v[51:52], v[55:56]
	s_waitcnt lgkmcnt(0)
	s_delay_alu instid0(VALU_DEP_4) | instskip(SKIP_1) | instid1(VALU_DEP_3)
	v_fma_f64 v[6:7], v[6:7], -0.5, v[37:38]
	v_add_f64 v[37:38], v[37:38], v[49:50]
	v_fma_f64 v[65:66], v[65:66], -0.5, v[39:40]
	v_add_f64 v[39:40], v[39:40], v[51:52]
	v_add_f64 v[51:52], v[51:52], -v[55:56]
	s_delay_alu instid0(VALU_DEP_4) | instskip(NEXT) | instid1(VALU_DEP_3)
	v_add_f64 v[37:38], v[37:38], v[53:54]
	v_add_f64 v[39:40], v[39:40], v[55:56]
	s_delay_alu instid0(VALU_DEP_3)
	v_fma_f64 v[49:50], v[51:52], s[0:1], v[6:7]
	v_fma_f64 v[53:54], v[51:52], s[2:3], v[6:7]
	;; [unrolled: 1-line block ×4, first 2 shown]
	v_add_f64 v[65:66], v[59:60], v[63:64]
	v_add_f64 v[6:7], v[57:58], v[61:62]
	s_delay_alu instid0(VALU_DEP_2) | instskip(SKIP_1) | instid1(VALU_DEP_3)
	v_fma_f64 v[65:66], v[65:66], -0.5, v[11:12]
	v_add_f64 v[11:12], v[11:12], v[59:60]
	v_fma_f64 v[6:7], v[6:7], -0.5, v[9:10]
	v_add_f64 v[9:10], v[9:10], v[57:58]
	v_add_f64 v[59:60], v[59:60], -v[63:64]
	s_delay_alu instid0(VALU_DEP_4) | instskip(SKIP_1) | instid1(VALU_DEP_4)
	v_add_f64 v[11:12], v[11:12], v[63:64]
	v_add_f64 v[63:64], v[57:58], -v[61:62]
	v_add_f64 v[9:10], v[9:10], v[61:62]
	s_delay_alu instid0(VALU_DEP_4) | instskip(SKIP_1) | instid1(VALU_DEP_4)
	v_fma_f64 v[57:58], v[59:60], s[0:1], v[6:7]
	v_fma_f64 v[61:62], v[59:60], s[2:3], v[6:7]
	;; [unrolled: 1-line block ×4, first 2 shown]
	ds_store_b128 v8, v[2:5]
	ds_store_b128 v8, v[13:16] offset:880
	ds_store_b128 v8, v[33:36] offset:1760
	;; [unrolled: 1-line block ×14, first 2 shown]
	s_waitcnt lgkmcnt(0)
	s_barrier
	buffer_gl0_inv
	ds_load_b128 v[2:5], v8
	ds_load_b128 v[9:12], v8 offset:1200
	s_clause 0x1
	scratch_load_b128 v[13:16], off, off offset:124
	scratch_load_b128 v[17:20], off, off offset:140
	s_mov_b32 s2, 0x3dc013dc
	s_mov_b32 s3, 0x3f53dc01
	s_mul_i32 s1, s5, 0x4b
	s_waitcnt vmcnt(1) lgkmcnt(1)
	v_mul_f64 v[6:7], v[15:16], v[4:5]
	s_delay_alu instid0(VALU_DEP_1) | instskip(SKIP_1) | instid1(VALU_DEP_1)
	v_fma_f64 v[6:7], v[13:14], v[2:3], v[6:7]
	v_mul_f64 v[2:3], v[15:16], v[2:3]
	v_fma_f64 v[13:14], v[13:14], v[4:5], -v[2:3]
	s_waitcnt vmcnt(0) lgkmcnt(0)
	v_mul_f64 v[2:3], v[19:20], v[11:12]
	s_delay_alu instid0(VALU_DEP_1) | instskip(SKIP_1) | instid1(VALU_DEP_1)
	v_fma_f64 v[15:16], v[17:18], v[9:10], v[2:3]
	v_mul_f64 v[2:3], v[19:20], v[9:10]
	v_fma_f64 v[17:18], v[17:18], v[11:12], -v[2:3]
	ds_load_b128 v[2:5], v8 offset:2400
	ds_load_b128 v[9:12], v8 offset:3600
	s_clause 0x1
	scratch_load_b128 v[21:24], off, off offset:156
	scratch_load_b128 v[25:28], off, off offset:172
	s_waitcnt vmcnt(1) lgkmcnt(1)
	v_mul_f64 v[19:20], v[23:24], v[4:5]
	s_delay_alu instid0(VALU_DEP_1) | instskip(SKIP_1) | instid1(VALU_DEP_1)
	v_fma_f64 v[19:20], v[21:22], v[2:3], v[19:20]
	v_mul_f64 v[2:3], v[23:24], v[2:3]
	v_fma_f64 v[21:22], v[21:22], v[4:5], -v[2:3]
	s_waitcnt vmcnt(0) lgkmcnt(0)
	v_mul_f64 v[2:3], v[27:28], v[11:12]
	s_delay_alu instid0(VALU_DEP_1) | instskip(SKIP_1) | instid1(VALU_DEP_1)
	v_fma_f64 v[23:24], v[25:26], v[9:10], v[2:3]
	v_mul_f64 v[2:3], v[27:28], v[9:10]
	v_fma_f64 v[25:26], v[25:26], v[11:12], -v[2:3]
	ds_load_b128 v[2:5], v8 offset:4800
	ds_load_b128 v[9:12], v8 offset:6000
	s_clause 0x1
	scratch_load_b128 v[29:32], off, off offset:236
	scratch_load_b128 v[33:36], off, off offset:220
	;; [unrolled: 17-line block ×4, first 2 shown]
	scratch_load_b128 v[53:56], off, off offset:268
	s_waitcnt vmcnt(2) lgkmcnt(1)
	v_mul_f64 v[43:44], v[47:48], v[4:5]
	s_delay_alu instid0(VALU_DEP_1) | instskip(SKIP_1) | instid1(VALU_DEP_1)
	v_fma_f64 v[43:44], v[45:46], v[2:3], v[43:44]
	v_mul_f64 v[2:3], v[47:48], v[2:3]
	v_fma_f64 v[45:46], v[45:46], v[4:5], -v[2:3]
	s_waitcnt vmcnt(1) lgkmcnt(0)
	v_mul_f64 v[2:3], v[51:52], v[11:12]
	s_delay_alu instid0(VALU_DEP_1) | instskip(SKIP_1) | instid1(VALU_DEP_1)
	v_fma_f64 v[47:48], v[49:50], v[9:10], v[2:3]
	v_mul_f64 v[2:3], v[51:52], v[9:10]
	v_fma_f64 v[49:50], v[49:50], v[11:12], -v[2:3]
	ds_load_b128 v[2:5], v8 offset:12000
	scratch_load_b32 v11, off, off          ; 4-byte Folded Reload
	s_waitcnt vmcnt(1) lgkmcnt(0)
	v_mul_f64 v[9:10], v[55:56], v[4:5]
	s_delay_alu instid0(VALU_DEP_1) | instskip(SKIP_1) | instid1(VALU_DEP_1)
	v_fma_f64 v[51:52], v[53:54], v[2:3], v[9:10]
	v_mul_f64 v[2:3], v[55:56], v[2:3]
	v_fma_f64 v[53:54], v[53:54], v[4:5], -v[2:3]
	scratch_load_b64 v[2:3], off, off offset:116 ; 8-byte Folded Reload
	s_waitcnt vmcnt(0)
	v_mov_b32_e32 v9, v2
	s_delay_alu instid0(VALU_DEP_1) | instskip(SKIP_1) | instid1(SALU_CYCLE_1)
	v_mad_u64_u32 v[2:3], null, s6, v9, 0
	s_mul_hi_u32 s6, s4, 0x4b
	s_add_i32 s1, s6, s1
	s_delay_alu instid0(VALU_DEP_1) | instskip(NEXT) | instid1(VALU_DEP_1)
	v_mad_u64_u32 v[4:5], null, s7, v9, v[3:4]
	v_mov_b32_e32 v3, v4
	v_mad_u64_u32 v[4:5], null, s4, v11, 0
	s_delay_alu instid0(VALU_DEP_2) | instskip(NEXT) | instid1(VALU_DEP_2)
	v_lshlrev_b64 v[2:3], 4, v[2:3]
	v_mad_u64_u32 v[9:10], null, s5, v11, v[5:6]
	v_mul_f64 v[11:12], v[21:22], s[2:3]
	v_mul_f64 v[21:22], v[35:36], s[2:3]
	;; [unrolled: 1-line block ×3, first 2 shown]
	s_delay_alu instid0(VALU_DEP_4) | instskip(SKIP_1) | instid1(VALU_DEP_1)
	v_mov_b32_e32 v5, v9
	v_add_co_u32 v9, s0, s10, v2
	v_add_co_ci_u32_e64 v10, s0, s11, v3, s0
	s_delay_alu instid0(VALU_DEP_3) | instskip(SKIP_3) | instid1(VALU_DEP_4)
	v_lshlrev_b64 v[2:3], 4, v[4:5]
	v_mul_f64 v[4:5], v[13:14], s[2:3]
	v_mul_f64 v[13:14], v[27:28], s[2:3]
	;; [unrolled: 1-line block ×3, first 2 shown]
	v_add_co_u32 v55, s0, v9, v2
	s_delay_alu instid0(VALU_DEP_1)
	v_add_co_ci_u32_e64 v56, s0, v10, v3, s0
	v_mul_f64 v[2:3], v[6:7], s[2:3]
	v_mul_f64 v[9:10], v[19:20], s[2:3]
	s_mul_i32 s0, s4, 0x4b
	v_mul_f64 v[19:20], v[33:34], s[2:3]
	s_lshl_b64 s[6:7], s[0:1], 4
	v_mul_f64 v[33:34], v[47:48], s[2:3]
	v_add_co_u32 v6, s0, v55, s6
	s_delay_alu instid0(VALU_DEP_1)
	v_add_co_ci_u32_e64 v7, s0, s7, v56, s0
	global_store_b128 v[55:56], v[2:5], off
	v_mul_f64 v[2:3], v[15:16], s[2:3]
	v_mul_f64 v[4:5], v[17:18], s[2:3]
	;; [unrolled: 1-line block ×6, first 2 shown]
	global_store_b128 v[6:7], v[2:5], off
	v_mul_f64 v[2:3], v[23:24], s[2:3]
	v_mul_f64 v[4:5], v[25:26], s[2:3]
	v_add_co_u32 v6, s0, v6, s6
	s_delay_alu instid0(VALU_DEP_1) | instskip(SKIP_1) | instid1(VALU_DEP_3)
	v_add_co_ci_u32_e64 v7, s0, s7, v7, s0
	v_mul_f64 v[23:24], v[37:38], s[2:3]
	v_add_co_u32 v55, s0, v6, s6
	s_delay_alu instid0(VALU_DEP_1) | instskip(SKIP_1) | instid1(VALU_DEP_3)
	v_add_co_ci_u32_e64 v56, s0, s7, v7, s0
	v_mul_f64 v[25:26], v[39:40], s[2:3]
	v_add_co_u32 v41, s0, v55, s6
	s_delay_alu instid0(VALU_DEP_1) | instskip(SKIP_4) | instid1(VALU_DEP_1)
	v_add_co_ci_u32_e64 v42, s0, s7, v56, s0
	v_mul_f64 v[37:38], v[51:52], s[2:3]
	v_mul_f64 v[39:40], v[53:54], s[2:3]
	global_store_b128 v[6:7], v[9:12], off
	v_add_co_u32 v6, s0, v41, s6
	v_add_co_ci_u32_e64 v7, s0, s7, v42, s0
	s_delay_alu instid0(VALU_DEP_2) | instskip(NEXT) | instid1(VALU_DEP_1)
	v_add_co_u32 v9, s0, v6, s6
	v_add_co_ci_u32_e64 v10, s0, s7, v7, s0
	s_delay_alu instid0(VALU_DEP_2) | instskip(NEXT) | instid1(VALU_DEP_1)
	v_add_co_u32 v11, s0, v9, s6
	v_add_co_ci_u32_e64 v12, s0, s7, v10, s0
	global_store_b128 v[55:56], v[2:5], off
	v_add_co_u32 v4, s0, v11, s6
	s_delay_alu instid0(VALU_DEP_1) | instskip(NEXT) | instid1(VALU_DEP_2)
	v_add_co_ci_u32_e64 v5, s0, s7, v12, s0
	v_add_co_u32 v43, s0, v4, s6
	s_delay_alu instid0(VALU_DEP_1) | instskip(NEXT) | instid1(VALU_DEP_2)
	v_add_co_ci_u32_e64 v44, s0, s7, v5, s0
	v_add_co_u32 v2, s0, v43, s6
	s_delay_alu instid0(VALU_DEP_1)
	v_add_co_ci_u32_e64 v3, s0, s7, v44, s0
	global_store_b128 v[41:42], v[13:16], off
	global_store_b128 v[6:7], v[17:20], off
	;; [unrolled: 1-line block ×7, first 2 shown]
	s_and_b32 exec_lo, exec_lo, vcc_lo
	s_cbranch_execz .LBB0_15
; %bb.14:
	global_load_b128 v[4:7], v[0:1], off offset:880
	ds_load_b128 v[9:12], v8 offset:880
	ds_load_b128 v[13:16], v8 offset:2080
	s_mul_i32 s0, s5, 0xffffd490
	s_delay_alu instid0(SALU_CYCLE_1) | instskip(SKIP_3) | instid1(VALU_DEP_2)
	s_sub_i32 s0, s0, s4
	s_waitcnt vmcnt(0) lgkmcnt(1)
	v_mul_f64 v[17:18], v[11:12], v[6:7]
	v_mul_f64 v[6:7], v[9:10], v[6:7]
	v_fma_f64 v[9:10], v[9:10], v[4:5], v[17:18]
	s_delay_alu instid0(VALU_DEP_2) | instskip(NEXT) | instid1(VALU_DEP_2)
	v_fma_f64 v[6:7], v[4:5], v[11:12], -v[6:7]
	v_mul_f64 v[4:5], v[9:10], s[2:3]
	s_delay_alu instid0(VALU_DEP_2) | instskip(SKIP_1) | instid1(VALU_DEP_1)
	v_mul_f64 v[6:7], v[6:7], s[2:3]
	v_mad_u64_u32 v[9:10], null, 0xffffd490, s4, v[2:3]
	v_add_nc_u32_e32 v10, s0, v10
	global_store_b128 v[9:10], v[4:7], off
	global_load_b128 v[2:5], v[0:1], off offset:2080
	s_waitcnt vmcnt(0) lgkmcnt(0)
	v_mul_f64 v[6:7], v[15:16], v[4:5]
	v_mul_f64 v[4:5], v[13:14], v[4:5]
	s_delay_alu instid0(VALU_DEP_2) | instskip(NEXT) | instid1(VALU_DEP_2)
	v_fma_f64 v[6:7], v[13:14], v[2:3], v[6:7]
	v_fma_f64 v[4:5], v[2:3], v[15:16], -v[4:5]
	v_add_co_u32 v13, vcc_lo, v9, s6
	v_add_co_ci_u32_e32 v14, vcc_lo, s7, v10, vcc_lo
	s_delay_alu instid0(VALU_DEP_4) | instskip(NEXT) | instid1(VALU_DEP_4)
	v_mul_f64 v[2:3], v[6:7], s[2:3]
	v_mul_f64 v[4:5], v[4:5], s[2:3]
	global_store_b128 v[13:14], v[2:5], off
	global_load_b128 v[0:3], v[0:1], off offset:3280
	ds_load_b128 v[4:7], v8 offset:3280
	ds_load_b128 v[9:12], v8 offset:4480
	scratch_load_b64 v[17:18], off, off offset:108 ; 8-byte Folded Reload
	s_waitcnt vmcnt(1) lgkmcnt(1)
	v_mul_f64 v[15:16], v[6:7], v[2:3]
	v_mul_f64 v[2:3], v[4:5], v[2:3]
	s_delay_alu instid0(VALU_DEP_2) | instskip(NEXT) | instid1(VALU_DEP_2)
	v_fma_f64 v[4:5], v[4:5], v[0:1], v[15:16]
	v_fma_f64 v[2:3], v[0:1], v[6:7], -v[2:3]
	s_delay_alu instid0(VALU_DEP_2) | instskip(NEXT) | instid1(VALU_DEP_2)
	v_mul_f64 v[0:1], v[4:5], s[2:3]
	v_mul_f64 v[2:3], v[2:3], s[2:3]
	v_add_co_u32 v4, vcc_lo, v13, s6
	v_add_co_ci_u32_e32 v5, vcc_lo, s7, v14, vcc_lo
	s_delay_alu instid0(VALU_DEP_2) | instskip(NEXT) | instid1(VALU_DEP_2)
	v_add_co_u32 v13, vcc_lo, v4, s6
	v_add_co_ci_u32_e32 v14, vcc_lo, s7, v5, vcc_lo
	global_store_b128 v[4:5], v[0:3], off
	s_waitcnt vmcnt(0)
	global_load_b128 v[0:3], v[17:18], off offset:384
	s_waitcnt vmcnt(0) lgkmcnt(0)
	v_mul_f64 v[6:7], v[11:12], v[2:3]
	v_mul_f64 v[2:3], v[9:10], v[2:3]
	s_delay_alu instid0(VALU_DEP_2) | instskip(NEXT) | instid1(VALU_DEP_2)
	v_fma_f64 v[6:7], v[9:10], v[0:1], v[6:7]
	v_fma_f64 v[2:3], v[0:1], v[11:12], -v[2:3]
	s_delay_alu instid0(VALU_DEP_2) | instskip(NEXT) | instid1(VALU_DEP_2)
	v_mul_f64 v[0:1], v[6:7], s[2:3]
	v_mul_f64 v[2:3], v[2:3], s[2:3]
	global_store_b128 v[13:14], v[0:3], off
	global_load_b128 v[0:3], v[17:18], off offset:1584
	ds_load_b128 v[4:7], v8 offset:5680
	ds_load_b128 v[9:12], v8 offset:6880
	s_waitcnt vmcnt(0) lgkmcnt(1)
	v_mul_f64 v[15:16], v[6:7], v[2:3]
	v_mul_f64 v[2:3], v[4:5], v[2:3]
	s_delay_alu instid0(VALU_DEP_2) | instskip(NEXT) | instid1(VALU_DEP_2)
	v_fma_f64 v[4:5], v[4:5], v[0:1], v[15:16]
	v_fma_f64 v[2:3], v[0:1], v[6:7], -v[2:3]
	s_delay_alu instid0(VALU_DEP_2) | instskip(NEXT) | instid1(VALU_DEP_2)
	v_mul_f64 v[0:1], v[4:5], s[2:3]
	v_mul_f64 v[2:3], v[2:3], s[2:3]
	v_add_co_u32 v4, vcc_lo, v13, s6
	v_add_co_ci_u32_e32 v5, vcc_lo, s7, v14, vcc_lo
	s_delay_alu instid0(VALU_DEP_2) | instskip(NEXT) | instid1(VALU_DEP_2)
	v_add_co_u32 v13, vcc_lo, v4, s6
	v_add_co_ci_u32_e32 v14, vcc_lo, s7, v5, vcc_lo
	global_store_b128 v[4:5], v[0:3], off
	global_load_b128 v[0:3], v[17:18], off offset:2784
	s_waitcnt vmcnt(0) lgkmcnt(0)
	v_mul_f64 v[6:7], v[11:12], v[2:3]
	v_mul_f64 v[2:3], v[9:10], v[2:3]
	s_delay_alu instid0(VALU_DEP_2) | instskip(NEXT) | instid1(VALU_DEP_2)
	v_fma_f64 v[6:7], v[9:10], v[0:1], v[6:7]
	v_fma_f64 v[2:3], v[0:1], v[11:12], -v[2:3]
	s_delay_alu instid0(VALU_DEP_2) | instskip(NEXT) | instid1(VALU_DEP_2)
	v_mul_f64 v[0:1], v[6:7], s[2:3]
	v_mul_f64 v[2:3], v[2:3], s[2:3]
	global_store_b128 v[13:14], v[0:3], off
	global_load_b128 v[0:3], v[17:18], off offset:3984
	ds_load_b128 v[4:7], v8 offset:8080
	ds_load_b128 v[9:12], v8 offset:9280
	scratch_load_b64 v[17:18], off, off offset:100 ; 8-byte Folded Reload
	s_waitcnt vmcnt(1) lgkmcnt(1)
	v_mul_f64 v[15:16], v[6:7], v[2:3]
	v_mul_f64 v[2:3], v[4:5], v[2:3]
	s_delay_alu instid0(VALU_DEP_2) | instskip(NEXT) | instid1(VALU_DEP_2)
	v_fma_f64 v[4:5], v[4:5], v[0:1], v[15:16]
	v_fma_f64 v[2:3], v[0:1], v[6:7], -v[2:3]
	s_delay_alu instid0(VALU_DEP_2) | instskip(NEXT) | instid1(VALU_DEP_2)
	v_mul_f64 v[0:1], v[4:5], s[2:3]
	v_mul_f64 v[2:3], v[2:3], s[2:3]
	v_add_co_u32 v4, vcc_lo, v13, s6
	v_add_co_ci_u32_e32 v5, vcc_lo, s7, v14, vcc_lo
	s_delay_alu instid0(VALU_DEP_2) | instskip(NEXT) | instid1(VALU_DEP_2)
	v_add_co_u32 v13, vcc_lo, v4, s6
	v_add_co_ci_u32_e32 v14, vcc_lo, s7, v5, vcc_lo
	global_store_b128 v[4:5], v[0:3], off
	s_waitcnt vmcnt(0)
	global_load_b128 v[0:3], v[17:18], off offset:1088
	s_waitcnt vmcnt(0) lgkmcnt(0)
	v_mul_f64 v[6:7], v[11:12], v[2:3]
	v_mul_f64 v[2:3], v[9:10], v[2:3]
	s_delay_alu instid0(VALU_DEP_2) | instskip(NEXT) | instid1(VALU_DEP_2)
	v_fma_f64 v[6:7], v[9:10], v[0:1], v[6:7]
	v_fma_f64 v[2:3], v[0:1], v[11:12], -v[2:3]
	s_delay_alu instid0(VALU_DEP_2) | instskip(NEXT) | instid1(VALU_DEP_2)
	v_mul_f64 v[0:1], v[6:7], s[2:3]
	v_mul_f64 v[2:3], v[2:3], s[2:3]
	global_store_b128 v[13:14], v[0:3], off
	global_load_b128 v[0:3], v[17:18], off offset:2288
	ds_load_b128 v[4:7], v8 offset:10480
	ds_load_b128 v[9:12], v8 offset:11680
	s_waitcnt vmcnt(0) lgkmcnt(1)
	v_mul_f64 v[15:16], v[6:7], v[2:3]
	v_mul_f64 v[2:3], v[4:5], v[2:3]
	s_delay_alu instid0(VALU_DEP_2) | instskip(NEXT) | instid1(VALU_DEP_2)
	v_fma_f64 v[4:5], v[4:5], v[0:1], v[15:16]
	v_fma_f64 v[2:3], v[0:1], v[6:7], -v[2:3]
	s_delay_alu instid0(VALU_DEP_2) | instskip(NEXT) | instid1(VALU_DEP_2)
	v_mul_f64 v[0:1], v[4:5], s[2:3]
	v_mul_f64 v[2:3], v[2:3], s[2:3]
	v_add_co_u32 v4, vcc_lo, v13, s6
	v_add_co_ci_u32_e32 v5, vcc_lo, s7, v14, vcc_lo
	global_store_b128 v[4:5], v[0:3], off
	global_load_b128 v[0:3], v[17:18], off offset:3488
	s_waitcnt vmcnt(0) lgkmcnt(0)
	v_mul_f64 v[6:7], v[11:12], v[2:3]
	v_mul_f64 v[2:3], v[9:10], v[2:3]
	s_delay_alu instid0(VALU_DEP_2) | instskip(NEXT) | instid1(VALU_DEP_2)
	v_fma_f64 v[6:7], v[9:10], v[0:1], v[6:7]
	v_fma_f64 v[2:3], v[0:1], v[11:12], -v[2:3]
	v_add_co_u32 v9, vcc_lo, v4, s6
	v_add_co_ci_u32_e32 v10, vcc_lo, s7, v5, vcc_lo
	s_delay_alu instid0(VALU_DEP_4) | instskip(NEXT) | instid1(VALU_DEP_4)
	v_mul_f64 v[0:1], v[6:7], s[2:3]
	v_mul_f64 v[2:3], v[2:3], s[2:3]
	ds_load_b128 v[4:7], v8 offset:12880
	global_store_b128 v[9:10], v[0:3], off
	scratch_load_b64 v[0:1], off, off offset:320 ; 8-byte Folded Reload
	s_waitcnt vmcnt(0)
	global_load_b128 v[0:3], v[0:1], off offset:592
	s_waitcnt vmcnt(0) lgkmcnt(0)
	v_mul_f64 v[11:12], v[6:7], v[2:3]
	v_mul_f64 v[2:3], v[4:5], v[2:3]
	s_delay_alu instid0(VALU_DEP_2) | instskip(NEXT) | instid1(VALU_DEP_2)
	v_fma_f64 v[4:5], v[4:5], v[0:1], v[11:12]
	v_fma_f64 v[2:3], v[0:1], v[6:7], -v[2:3]
	s_delay_alu instid0(VALU_DEP_2) | instskip(NEXT) | instid1(VALU_DEP_2)
	v_mul_f64 v[0:1], v[4:5], s[2:3]
	v_mul_f64 v[2:3], v[2:3], s[2:3]
	v_add_co_u32 v4, vcc_lo, v9, s6
	v_add_co_ci_u32_e32 v5, vcc_lo, s7, v10, vcc_lo
	global_store_b128 v[4:5], v[0:3], off
.LBB0_15:
	s_nop 0
	s_sendmsg sendmsg(MSG_DEALLOC_VGPRS)
	s_endpgm
	.section	.rodata,"a",@progbits
	.p2align	6, 0x0
	.amdhsa_kernel bluestein_single_back_len825_dim1_dp_op_CI_CI
		.amdhsa_group_segment_fixed_size 13200
		.amdhsa_private_segment_fixed_size 332
		.amdhsa_kernarg_size 104
		.amdhsa_user_sgpr_count 15
		.amdhsa_user_sgpr_dispatch_ptr 0
		.amdhsa_user_sgpr_queue_ptr 0
		.amdhsa_user_sgpr_kernarg_segment_ptr 1
		.amdhsa_user_sgpr_dispatch_id 0
		.amdhsa_user_sgpr_private_segment_size 0
		.amdhsa_wavefront_size32 1
		.amdhsa_uses_dynamic_stack 0
		.amdhsa_enable_private_segment 1
		.amdhsa_system_sgpr_workgroup_id_x 1
		.amdhsa_system_sgpr_workgroup_id_y 0
		.amdhsa_system_sgpr_workgroup_id_z 0
		.amdhsa_system_sgpr_workgroup_info 0
		.amdhsa_system_vgpr_workitem_id 0
		.amdhsa_next_free_vgpr 256
		.amdhsa_next_free_sgpr 38
		.amdhsa_reserve_vcc 1
		.amdhsa_float_round_mode_32 0
		.amdhsa_float_round_mode_16_64 0
		.amdhsa_float_denorm_mode_32 3
		.amdhsa_float_denorm_mode_16_64 3
		.amdhsa_dx10_clamp 1
		.amdhsa_ieee_mode 1
		.amdhsa_fp16_overflow 0
		.amdhsa_workgroup_processor_mode 1
		.amdhsa_memory_ordered 1
		.amdhsa_forward_progress 0
		.amdhsa_shared_vgpr_count 0
		.amdhsa_exception_fp_ieee_invalid_op 0
		.amdhsa_exception_fp_denorm_src 0
		.amdhsa_exception_fp_ieee_div_zero 0
		.amdhsa_exception_fp_ieee_overflow 0
		.amdhsa_exception_fp_ieee_underflow 0
		.amdhsa_exception_fp_ieee_inexact 0
		.amdhsa_exception_int_div_zero 0
	.end_amdhsa_kernel
	.text
.Lfunc_end0:
	.size	bluestein_single_back_len825_dim1_dp_op_CI_CI, .Lfunc_end0-bluestein_single_back_len825_dim1_dp_op_CI_CI
                                        ; -- End function
	.section	.AMDGPU.csdata,"",@progbits
; Kernel info:
; codeLenInByte = 30912
; NumSgprs: 40
; NumVgprs: 256
; ScratchSize: 332
; MemoryBound: 0
; FloatMode: 240
; IeeeMode: 1
; LDSByteSize: 13200 bytes/workgroup (compile time only)
; SGPRBlocks: 4
; VGPRBlocks: 31
; NumSGPRsForWavesPerEU: 40
; NumVGPRsForWavesPerEU: 256
; Occupancy: 5
; WaveLimiterHint : 1
; COMPUTE_PGM_RSRC2:SCRATCH_EN: 1
; COMPUTE_PGM_RSRC2:USER_SGPR: 15
; COMPUTE_PGM_RSRC2:TRAP_HANDLER: 0
; COMPUTE_PGM_RSRC2:TGID_X_EN: 1
; COMPUTE_PGM_RSRC2:TGID_Y_EN: 0
; COMPUTE_PGM_RSRC2:TGID_Z_EN: 0
; COMPUTE_PGM_RSRC2:TIDIG_COMP_CNT: 0
	.text
	.p2alignl 7, 3214868480
	.fill 96, 4, 3214868480
	.type	__hip_cuid_94631c9d3af1870f,@object ; @__hip_cuid_94631c9d3af1870f
	.section	.bss,"aw",@nobits
	.globl	__hip_cuid_94631c9d3af1870f
__hip_cuid_94631c9d3af1870f:
	.byte	0                               ; 0x0
	.size	__hip_cuid_94631c9d3af1870f, 1

	.ident	"AMD clang version 19.0.0git (https://github.com/RadeonOpenCompute/llvm-project roc-6.4.0 25133 c7fe45cf4b819c5991fe208aaa96edf142730f1d)"
	.section	".note.GNU-stack","",@progbits
	.addrsig
	.addrsig_sym __hip_cuid_94631c9d3af1870f
	.amdgpu_metadata
---
amdhsa.kernels:
  - .args:
      - .actual_access:  read_only
        .address_space:  global
        .offset:         0
        .size:           8
        .value_kind:     global_buffer
      - .actual_access:  read_only
        .address_space:  global
        .offset:         8
        .size:           8
        .value_kind:     global_buffer
      - .actual_access:  read_only
        .address_space:  global
        .offset:         16
        .size:           8
        .value_kind:     global_buffer
      - .actual_access:  read_only
        .address_space:  global
        .offset:         24
        .size:           8
        .value_kind:     global_buffer
      - .actual_access:  read_only
        .address_space:  global
        .offset:         32
        .size:           8
        .value_kind:     global_buffer
      - .offset:         40
        .size:           8
        .value_kind:     by_value
      - .address_space:  global
        .offset:         48
        .size:           8
        .value_kind:     global_buffer
      - .address_space:  global
        .offset:         56
        .size:           8
        .value_kind:     global_buffer
      - .address_space:  global
        .offset:         64
        .size:           8
        .value_kind:     global_buffer
      - .address_space:  global
        .offset:         72
        .size:           8
        .value_kind:     global_buffer
      - .offset:         80
        .size:           4
        .value_kind:     by_value
      - .address_space:  global
        .offset:         88
        .size:           8
        .value_kind:     global_buffer
      - .address_space:  global
        .offset:         96
        .size:           8
        .value_kind:     global_buffer
    .group_segment_fixed_size: 13200
    .kernarg_segment_align: 8
    .kernarg_segment_size: 104
    .language:       OpenCL C
    .language_version:
      - 2
      - 0
    .max_flat_workgroup_size: 55
    .name:           bluestein_single_back_len825_dim1_dp_op_CI_CI
    .private_segment_fixed_size: 332
    .sgpr_count:     40
    .sgpr_spill_count: 0
    .symbol:         bluestein_single_back_len825_dim1_dp_op_CI_CI.kd
    .uniform_work_group_size: 1
    .uses_dynamic_stack: false
    .vgpr_count:     256
    .vgpr_spill_count: 106
    .wavefront_size: 32
    .workgroup_processor_mode: 1
amdhsa.target:   amdgcn-amd-amdhsa--gfx1100
amdhsa.version:
  - 1
  - 2
...

	.end_amdgpu_metadata
